;; amdgpu-corpus repo=ROCm/rocFFT kind=compiled arch=gfx1201 opt=O3
	.text
	.amdgcn_target "amdgcn-amd-amdhsa--gfx1201"
	.amdhsa_code_object_version 6
	.protected	bluestein_single_fwd_len845_dim1_dp_op_CI_CI ; -- Begin function bluestein_single_fwd_len845_dim1_dp_op_CI_CI
	.globl	bluestein_single_fwd_len845_dim1_dp_op_CI_CI
	.p2align	8
	.type	bluestein_single_fwd_len845_dim1_dp_op_CI_CI,@function
bluestein_single_fwd_len845_dim1_dp_op_CI_CI: ; @bluestein_single_fwd_len845_dim1_dp_op_CI_CI
; %bb.0:
	s_load_b128 s[16:19], s[0:1], 0x28
	v_mul_u32_u24_e32 v1, 0x3f1, v0
	s_mov_b32 s2, exec_lo
	s_delay_alu instid0(VALU_DEP_1) | instskip(NEXT) | instid1(VALU_DEP_1)
	v_lshrrev_b32_e32 v1, 16, v1
	v_mad_co_u64_u32 v[208:209], null, ttmp9, 3, v[1:2]
	v_mov_b32_e32 v209, 0
                                        ; kill: def $vgpr2 killed $sgpr0 killed $exec
	s_wait_kmcnt 0x0
	s_delay_alu instid0(VALU_DEP_1)
	v_cmpx_gt_u64_e64 s[16:17], v[208:209]
	s_cbranch_execz .LBB0_10
; %bb.1:
	s_clause 0x1
	s_load_b128 s[4:7], s[0:1], 0x18
	s_load_b128 s[8:11], s[0:1], 0x0
	v_mul_lo_u16 v1, 0x41, v1
	s_mov_b32 s28, 0x42a4c3d2
	s_mov_b32 s26, 0x66966769
	;; [unrolled: 1-line block ×4, first 2 shown]
	v_sub_nc_u16 v20, v0, v1
	s_mov_b32 s16, 0x4bc48dbf
	s_mov_b32 s35, 0xbfddbe06
	;; [unrolled: 1-line block ×4, first 2 shown]
	v_and_b32_e32 v39, 0xffff, v20
	s_mov_b32 s27, 0xbfefc445
	s_mov_b32 s25, 0xbfedeba7
	;; [unrolled: 1-line block ×4, first 2 shown]
	v_lshlrev_b32_e32 v225, 4, v39
	s_mov_b32 s30, 0xe00740e9
	s_mov_b32 s20, 0x1ea71119
	s_wait_kmcnt 0x0
	s_load_b128 s[12:15], s[4:5], 0x0
	s_mov_b32 s31, 0x3fec55a7
	s_mov_b32 s21, 0x3fe22d96
	;; [unrolled: 1-line block ×8, first 2 shown]
	s_load_b64 s[0:1], s[0:1], 0x38
	s_wait_kmcnt 0x0
	v_mad_co_u64_u32 v[0:1], null, s14, v208, 0
	v_mad_co_u64_u32 v[2:3], null, s12, v39, 0
	s_mul_u64 s[2:3], s[12:13], 0x410
	s_delay_alu instid0(VALU_DEP_1) | instskip(SKIP_2) | instid1(VALU_DEP_1)
	v_mad_co_u64_u32 v[4:5], null, s15, v208, v[1:2]
	s_mov_b32 s14, 0xb2365da1
	s_mov_b32 s15, 0xbfd6b1d8
	v_mad_co_u64_u32 v[5:6], null, s13, v39, v[3:4]
	v_mov_b32_e32 v1, v4
	s_mov_b32 s12, 0xd0032e0c
	s_mov_b32 s13, 0xbfe7f3cc
	s_delay_alu instid0(VALU_DEP_1) | instskip(NEXT) | instid1(VALU_DEP_3)
	v_lshlrev_b64_e32 v[0:1], 4, v[0:1]
	v_mov_b32_e32 v3, v5
	s_delay_alu instid0(VALU_DEP_2) | instskip(NEXT) | instid1(VALU_DEP_2)
	v_add_co_u32 v0, vcc_lo, s18, v0
	v_lshlrev_b64_e32 v[2:3], 4, v[2:3]
	s_delay_alu instid0(VALU_DEP_4) | instskip(SKIP_2) | instid1(VALU_DEP_2)
	v_add_co_ci_u32_e32 v1, vcc_lo, s19, v1, vcc_lo
	s_mov_b32 s18, 0xebaa3ed8
	s_mov_b32 s19, 0x3fbedb7d
	v_add_co_u32 v4, vcc_lo, v0, v2
	s_wait_alu 0xfffd
	v_add_co_ci_u32_e32 v5, vcc_lo, v1, v3, vcc_lo
	s_delay_alu instid0(VALU_DEP_2) | instskip(SKIP_1) | instid1(VALU_DEP_2)
	v_add_co_u32 v8, vcc_lo, v4, s2
	s_wait_alu 0xfffd
	v_add_co_ci_u32_e32 v9, vcc_lo, s3, v5, vcc_lo
	global_load_b128 v[0:3], v[4:5], off
	s_clause 0x1
	global_load_b128 v[27:30], v225, s[8:9]
	global_load_b128 v[23:26], v225, s[8:9] offset:1040
	global_load_b128 v[4:7], v[8:9], off
	v_add_co_u32 v12, vcc_lo, v8, s2
	s_wait_alu 0xfffd
	v_add_co_ci_u32_e32 v13, vcc_lo, s3, v9, vcc_lo
	global_load_b128 v[8:11], v[12:13], off
	global_load_b128 v[31:34], v225, s[8:9] offset:2080
	s_wait_loadcnt 0x4
	scratch_store_b128 off, v[27:30], off offset:20 ; 16-byte Folded Spill
	s_wait_loadcnt 0x3
	scratch_store_b128 off, v[23:26], off offset:4 ; 16-byte Folded Spill
	v_mul_f64_e32 v[14:15], v[2:3], v[29:30]
	s_wait_loadcnt 0x2
	v_mul_f64_e32 v[18:19], v[6:7], v[25:26]
	v_mul_f64_e32 v[16:17], v[0:1], v[29:30]
	;; [unrolled: 1-line block ×3, first 2 shown]
	s_delay_alu instid0(VALU_DEP_4)
	v_fma_f64 v[0:1], v[0:1], v[27:28], v[14:15]
	s_wait_loadcnt 0x0
	v_mul_f64_e32 v[14:15], v[10:11], v[33:34]
	v_fma_f64 v[4:5], v[4:5], v[23:24], v[18:19]
	v_add_co_u32 v18, vcc_lo, v12, s2
	s_wait_alu 0xfffd
	v_add_co_ci_u32_e32 v19, vcc_lo, s3, v13, vcc_lo
	v_fma_f64 v[2:3], v[2:3], v[27:28], -v[16:17]
	global_load_b128 v[27:30], v225, s[8:9] offset:3120
	v_mul_f64_e32 v[16:17], v[8:9], v[33:34]
	v_fma_f64 v[6:7], v[6:7], v[23:24], -v[21:22]
	v_add_co_u32 v21, vcc_lo, v18, s2
	s_wait_alu 0xfffd
	v_add_co_ci_u32_e32 v22, vcc_lo, s3, v19, vcc_lo
	scratch_store_b128 off, v[31:34], off offset:36 ; 16-byte Folded Spill
	v_fma_f64 v[8:9], v[8:9], v[31:32], v[14:15]
	global_load_b128 v[12:15], v[18:19], off
	v_fma_f64 v[10:11], v[10:11], v[31:32], -v[16:17]
	global_load_b128 v[16:19], v[21:22], off
	s_wait_loadcnt 0x2
	scratch_store_b128 off, v[27:30], off offset:56 ; 16-byte Folded Spill
	s_wait_loadcnt 0x1
	v_mul_f64_e32 v[23:24], v[14:15], v[29:30]
	v_mul_f64_e32 v[25:26], v[12:13], v[29:30]
	s_delay_alu instid0(VALU_DEP_2) | instskip(NEXT) | instid1(VALU_DEP_2)
	v_fma_f64 v[12:13], v[12:13], v[27:28], v[23:24]
	v_fma_f64 v[14:15], v[14:15], v[27:28], -v[25:26]
	s_clause 0x1
	global_load_b128 v[27:30], v225, s[8:9] offset:4160
	global_load_b128 v[31:34], v225, s[8:9] offset:5200
	s_wait_loadcnt 0x1
	v_mul_f64_e32 v[25:26], v[16:17], v[29:30]
	v_mul_f64_e32 v[23:24], v[18:19], v[29:30]
	scratch_store_b128 off, v[27:30], off offset:72 ; 16-byte Folded Spill
	s_wait_loadcnt 0x0
	scratch_store_b128 off, v[31:34], off offset:88 ; 16-byte Folded Spill
	v_fma_f64 v[18:19], v[18:19], v[27:28], -v[25:26]
	v_add_co_u32 v25, vcc_lo, v21, s2
	s_wait_alu 0xfffd
	v_add_co_ci_u32_e32 v26, vcc_lo, s3, v22, vcc_lo
	v_fma_f64 v[16:17], v[16:17], v[27:28], v[23:24]
	global_load_b128 v[21:24], v[25:26], off
	s_wait_loadcnt 0x0
	v_mul_f64_e32 v[29:30], v[21:22], v[33:34]
	v_mul_f64_e32 v[27:28], v[23:24], v[33:34]
	s_delay_alu instid0(VALU_DEP_2) | instskip(SKIP_3) | instid1(VALU_DEP_4)
	v_fma_f64 v[23:24], v[23:24], v[31:32], -v[29:30]
	v_add_co_u32 v29, vcc_lo, v25, s2
	s_wait_alu 0xfffd
	v_add_co_ci_u32_e32 v30, vcc_lo, s3, v26, vcc_lo
	v_fma_f64 v[21:22], v[21:22], v[31:32], v[27:28]
	global_load_b128 v[25:28], v[29:30], off
	s_clause 0x1
	global_load_b128 v[35:38], v225, s[8:9] offset:6240
	global_load_b128 v[40:43], v225, s[8:9] offset:7280
	s_wait_loadcnt 0x1
	v_mul_f64_e32 v[33:34], v[25:26], v[37:38]
	v_mul_f64_e32 v[31:32], v[27:28], v[37:38]
	scratch_store_b128 off, v[35:38], off offset:104 ; 16-byte Folded Spill
	s_wait_loadcnt 0x0
	scratch_store_b128 off, v[40:43], off offset:120 ; 16-byte Folded Spill
	v_fma_f64 v[27:28], v[27:28], v[35:36], -v[33:34]
	v_add_co_u32 v33, vcc_lo, v29, s2
	s_wait_alu 0xfffd
	v_add_co_ci_u32_e32 v34, vcc_lo, s3, v30, vcc_lo
	v_fma_f64 v[25:26], v[25:26], v[35:36], v[31:32]
	global_load_b128 v[29:32], v[33:34], off
	s_wait_loadcnt 0x0
	v_mul_f64_e32 v[35:36], v[31:32], v[42:43]
	v_mul_f64_e32 v[37:38], v[29:30], v[42:43]
	s_delay_alu instid0(VALU_DEP_2) | instskip(SKIP_3) | instid1(VALU_DEP_4)
	v_fma_f64 v[52:53], v[29:30], v[40:41], v[35:36]
	v_add_co_u32 v29, vcc_lo, v33, s2
	s_wait_alu 0xfffd
	v_add_co_ci_u32_e32 v30, vcc_lo, s3, v34, vcc_lo
	v_fma_f64 v[54:55], v[31:32], v[40:41], -v[37:38]
	global_load_b128 v[40:43], v[29:30], off
	s_clause 0x1
	global_load_b128 v[31:34], v225, s[8:9] offset:8320
	global_load_b128 v[35:38], v225, s[8:9] offset:9360
	v_add_co_u32 v29, vcc_lo, v29, s2
	s_wait_alu 0xfffd
	v_add_co_ci_u32_e32 v30, vcc_lo, s3, v30, vcc_lo
	s_wait_loadcnt 0x1
	v_mul_f64_e32 v[44:45], v[42:43], v[33:34]
	v_mul_f64_e32 v[46:47], v[40:41], v[33:34]
	scratch_store_b128 off, v[31:34], off offset:136 ; 16-byte Folded Spill
	s_wait_loadcnt 0x0
	scratch_store_b128 off, v[35:38], off offset:152 ; 16-byte Folded Spill
	v_fma_f64 v[56:57], v[40:41], v[31:32], v[44:45]
	v_fma_f64 v[58:59], v[42:43], v[31:32], -v[46:47]
	global_load_b128 v[40:43], v[29:30], off
	v_add_co_u32 v29, vcc_lo, v29, s2
	s_wait_alu 0xfffd
	v_add_co_ci_u32_e32 v30, vcc_lo, s3, v30, vcc_lo
	s_wait_loadcnt 0x0
	v_mul_f64_e32 v[44:45], v[42:43], v[37:38]
	v_mul_f64_e32 v[46:47], v[40:41], v[37:38]
	s_delay_alu instid0(VALU_DEP_2) | instskip(NEXT) | instid1(VALU_DEP_2)
	v_fma_f64 v[60:61], v[40:41], v[35:36], v[44:45]
	v_fma_f64 v[62:63], v[42:43], v[35:36], -v[46:47]
	global_load_b128 v[48:51], v[29:30], off
	s_clause 0x1
	global_load_b128 v[31:34], v225, s[8:9] offset:10400
	global_load_b128 v[35:38], v225, s[8:9] offset:11440
	v_add_co_u32 v29, vcc_lo, v29, s2
	s_wait_alu 0xfffd
	v_add_co_ci_u32_e32 v30, vcc_lo, s3, v30, vcc_lo
	s_wait_loadcnt 0x1
	v_mul_f64_e32 v[64:65], v[50:51], v[33:34]
	v_mul_f64_e32 v[66:67], v[48:49], v[33:34]
	scratch_store_b128 off, v[31:34], off offset:168 ; 16-byte Folded Spill
	s_wait_loadcnt 0x0
	scratch_store_b128 off, v[35:38], off offset:184 ; 16-byte Folded Spill
	v_fma_f64 v[64:65], v[48:49], v[31:32], v[64:65]
	v_fma_f64 v[66:67], v[50:51], v[31:32], -v[66:67]
	global_load_b128 v[48:51], v[29:30], off
	v_add_co_u32 v29, vcc_lo, v29, s2
	s_wait_alu 0xfffd
	v_add_co_ci_u32_e32 v30, vcc_lo, s3, v30, vcc_lo
	global_load_b128 v[72:75], v[29:30], off
	global_load_b128 v[31:34], v225, s[8:9] offset:12480
	s_mov_b32 s2, 0x93053d00
	s_mov_b32 s3, 0xbfef11f4
	v_cmp_gt_u16_e32 vcc_lo, 39, v20
	s_wait_loadcnt 0x2
	v_mul_f64_e32 v[68:69], v[50:51], v[37:38]
	v_mul_f64_e32 v[70:71], v[48:49], v[37:38]
	s_wait_loadcnt 0x0
	v_mul_f64_e32 v[29:30], v[74:75], v[33:34]
	v_mul_f64_e32 v[76:77], v[72:73], v[33:34]
	scratch_store_b128 off, v[31:34], off offset:200 ; 16-byte Folded Spill
	v_fma_f64 v[68:69], v[48:49], v[35:36], v[68:69]
	v_fma_f64 v[70:71], v[50:51], v[35:36], -v[70:71]
	v_fma_f64 v[72:73], v[72:73], v[31:32], v[29:30]
	v_mul_hi_u32 v29, 0xaaaaaaab, v208
	v_fma_f64 v[74:75], v[74:75], v[31:32], -v[76:77]
	s_delay_alu instid0(VALU_DEP_2) | instskip(NEXT) | instid1(VALU_DEP_1)
	v_lshrrev_b32_e32 v29, 1, v29
	v_lshl_add_u32 v29, v29, 1, v29
	s_delay_alu instid0(VALU_DEP_1) | instskip(NEXT) | instid1(VALU_DEP_1)
	v_sub_nc_u32_e32 v29, v208, v29
	v_mul_u32_u24_e32 v29, 0x34d, v29
	s_delay_alu instid0(VALU_DEP_1) | instskip(NEXT) | instid1(VALU_DEP_1)
	v_lshlrev_b32_e32 v31, 4, v29
	v_add_nc_u32_e32 v255, v225, v31
	ds_store_b128 v255, v[0:3]
	ds_store_b128 v255, v[4:7] offset:1040
	ds_store_b128 v255, v[8:11] offset:2080
	;; [unrolled: 1-line block ×12, first 2 shown]
	s_load_b128 s[4:7], s[6:7], 0x0
	global_wb scope:SCOPE_SE
	s_wait_storecnt_dscnt 0x0
	s_wait_kmcnt 0x0
	s_barrier_signal -1
	s_barrier_wait -1
	global_inv scope:SCOPE_SE
	ds_load_b128 v[52:55], v255
	ds_load_b128 v[56:59], v255 offset:1040
	ds_load_b128 v[60:63], v255 offset:2080
	;; [unrolled: 1-line block ×7, first 2 shown]
	s_wait_dscnt 0x6
	v_add_f64_e32 v[0:1], v[52:53], v[56:57]
	v_add_f64_e32 v[2:3], v[54:55], v[58:59]
	s_wait_dscnt 0x5
	s_delay_alu instid0(VALU_DEP_2) | instskip(NEXT) | instid1(VALU_DEP_2)
	v_add_f64_e32 v[0:1], v[0:1], v[60:61]
	v_add_f64_e32 v[2:3], v[2:3], v[62:63]
	s_wait_dscnt 0x4
	s_delay_alu instid0(VALU_DEP_2) | instskip(NEXT) | instid1(VALU_DEP_2)
	;; [unrolled: 4-line block ×5, first 2 shown]
	v_add_f64_e32 v[12:13], v[0:1], v[4:5]
	v_add_f64_e32 v[14:15], v[2:3], v[6:7]
	s_wait_dscnt 0x0
	v_add_f64_e32 v[0:1], v[4:5], v[8:9]
	v_add_f64_e64 v[4:5], v[4:5], -v[8:9]
	v_add_f64_e32 v[2:3], v[6:7], v[10:11]
	v_add_f64_e64 v[6:7], v[6:7], -v[10:11]
	v_add_f64_e32 v[25:26], v[12:13], v[8:9]
	v_add_f64_e32 v[27:28], v[14:15], v[10:11]
	ds_load_b128 v[12:15], v255 offset:8320
	ds_load_b128 v[21:24], v255 offset:9360
	v_mul_f64_e32 v[160:161], s[22:23], v[4:5]
	v_mul_f64_e32 v[198:199], s[24:25], v[4:5]
	;; [unrolled: 1-line block ×4, first 2 shown]
	s_wait_dscnt 0x1
	v_add_f64_e32 v[8:9], v[72:73], v[12:13]
	v_add_f64_e64 v[16:17], v[72:73], -v[12:13]
	v_add_f64_e32 v[10:11], v[74:75], v[14:15]
	v_add_f64_e64 v[18:19], v[74:75], -v[14:15]
	v_add_f64_e32 v[25:26], v[25:26], v[12:13]
	v_add_f64_e32 v[27:28], v[27:28], v[14:15]
	s_wait_dscnt 0x0
	v_add_f64_e32 v[12:13], v[68:69], v[21:22]
	v_add_f64_e32 v[14:15], v[70:71], v[23:24]
	v_add_f64_e64 v[68:69], v[68:69], -v[21:22]
	v_add_f64_e64 v[70:71], v[70:71], -v[23:24]
	v_mul_f64_e32 v[136:137], s[36:37], v[16:17]
	v_mul_f64_e32 v[156:157], s[28:29], v[16:17]
	v_mul_f64_e32 v[134:135], s[36:37], v[18:19]
	v_mul_f64_e32 v[154:155], s[28:29], v[18:19]
	v_add_f64_e32 v[29:30], v[25:26], v[21:22]
	v_add_f64_e32 v[72:73], v[27:28], v[23:24]
	ds_load_b128 v[21:24], v255 offset:10400
	ds_load_b128 v[25:28], v255 offset:11440
	scratch_store_b32 off, v31, off         ; 4-byte Folded Spill
	v_mul_f64_e32 v[132:133], s[38:39], v[68:69]
	v_mul_f64_e32 v[130:131], s[38:39], v[70:71]
	;; [unrolled: 1-line block ×4, first 2 shown]
	s_wait_dscnt 0x1
	v_add_f64_e32 v[92:93], v[64:65], v[21:22]
	v_add_f64_e32 v[94:95], v[66:67], v[23:24]
	v_add_f64_e64 v[64:65], v[64:65], -v[21:22]
	v_add_f64_e64 v[66:67], v[66:67], -v[23:24]
	s_wait_dscnt 0x0
	v_add_f64_e64 v[96:97], v[60:61], -v[25:26]
	v_add_f64_e32 v[98:99], v[60:61], v[25:26]
	v_add_f64_e32 v[104:105], v[62:63], v[27:28]
	;; [unrolled: 1-line block ×4, first 2 shown]
	v_add_f64_e64 v[29:30], v[62:63], -v[27:28]
	v_mul_f64_e32 v[128:129], s[16:17], v[64:65]
	v_mul_f64_e32 v[146:147], s[40:41], v[66:67]
	;; [unrolled: 1-line block ×6, first 2 shown]
	s_mov_b32 s41, 0x3fea55e2
	s_mov_b32 s40, s28
	v_mul_f64_e32 v[184:185], s[36:37], v[96:97]
	s_wait_alu 0xfffe
	v_mul_f64_e32 v[178:179], s[40:41], v[6:7]
	v_mul_f64_e32 v[180:181], s[40:41], v[4:5]
	;; [unrolled: 1-line block ×3, first 2 shown]
	v_add_f64_e32 v[25:26], v[21:22], v[25:26]
	v_add_f64_e32 v[27:28], v[23:24], v[27:28]
	ds_load_b128 v[21:24], v255 offset:12480
	v_mul_f64_e32 v[142:143], s[16:17], v[29:30]
	v_mul_f64_e32 v[162:163], s[38:39], v[29:30]
	s_mov_b32 s39, 0x3fcea1e5
	s_mov_b32 s38, s16
	v_mul_f64_e32 v[182:183], s[36:37], v[29:30]
	s_wait_alu 0xfffe
	v_mul_f64_e32 v[174:175], s[38:39], v[18:19]
	v_mul_f64_e32 v[176:177], s[38:39], v[16:17]
	;; [unrolled: 1-line block ×4, first 2 shown]
	global_wb scope:SCOPE_SE
	s_wait_storecnt_dscnt 0x0
	s_barrier_signal -1
	s_barrier_wait -1
	global_inv scope:SCOPE_SE
	v_add_f64_e64 v[60:61], v[58:59], -v[23:24]
	v_add_f64_e64 v[62:63], v[56:57], -v[21:22]
	v_add_f64_e32 v[56:57], v[56:57], v[21:22]
	v_add_f64_e32 v[58:59], v[58:59], v[23:24]
	;; [unrolled: 1-line block ×4, first 2 shown]
	v_mul_f64_e32 v[25:26], s[34:35], v[60:61]
	v_mul_f64_e32 v[27:28], s[28:29], v[60:61]
	;; [unrolled: 1-line block ×10, first 2 shown]
	v_fma_f64 v[78:79], v[56:57], s[30:31], -v[25:26]
	v_fma_f64 v[25:26], v[56:57], s[30:31], v[25:26]
	v_fma_f64 v[80:81], v[56:57], s[20:21], -v[27:28]
	v_fma_f64 v[27:28], v[56:57], s[20:21], v[27:28]
	;; [unrolled: 2-line block ×6, first 2 shown]
	v_mul_f64_e32 v[60:61], s[34:35], v[62:63]
	v_mul_f64_e32 v[62:63], s[16:17], v[62:63]
	v_fma_f64 v[110:111], v[58:59], s[20:21], v[90:91]
	v_fma_f64 v[90:91], v[58:59], s[20:21], -v[90:91]
	v_fma_f64 v[112:113], v[58:59], s[18:19], v[100:101]
	v_fma_f64 v[100:101], v[58:59], s[18:19], -v[100:101]
	;; [unrolled: 2-line block ×4, first 2 shown]
	s_mov_b32 s35, 0x3fddbe06
	s_wait_alu 0xfffe
	v_mul_f64_e32 v[138:139], s[34:35], v[6:7]
	v_mul_f64_e32 v[140:141], s[34:35], v[4:5]
	;; [unrolled: 1-line block ×8, first 2 shown]
	v_add_f64_e32 v[120:121], v[52:53], v[78:79]
	v_add_f64_e32 v[122:123], v[52:53], v[25:26]
	;; [unrolled: 1-line block ×4, first 2 shown]
	v_fma_f64 v[108:109], v[58:59], s[30:31], v[60:61]
	v_fma_f64 v[60:61], v[58:59], s[30:31], -v[60:61]
	v_fma_f64 v[118:119], v[58:59], s[2:3], v[62:63]
	v_fma_f64 v[58:59], v[58:59], s[2:3], -v[62:63]
	v_add_f64_e32 v[62:63], v[52:53], v[27:28]
	v_add_f64_e32 v[80:81], v[54:55], v[112:113]
	;; [unrolled: 1-line block ×10, first 2 shown]
	v_fma_f64 v[56:57], v[92:93], s[14:15], -v[146:147]
	v_add_f64_e32 v[108:109], v[54:55], v[108:109]
	v_add_f64_e32 v[124:125], v[54:55], v[60:61]
	;; [unrolled: 1-line block ×9, first 2 shown]
	v_mul_f64_e32 v[118:119], s[24:25], v[29:30]
	v_add_f64_e32 v[116:117], v[54:55], v[58:59]
	v_fma_f64 v[54:55], v[104:105], s[2:3], v[144:145]
	v_fma_f64 v[58:59], v[104:105], s[12:13], v[164:165]
	s_delay_alu instid0(VALU_DEP_4) | instskip(NEXT) | instid1(VALU_DEP_3)
	v_fma_f64 v[27:28], v[98:99], s[14:15], -v[118:119]
	v_add_f64_e32 v[54:55], v[54:55], v[80:81]
	s_delay_alu instid0(VALU_DEP_3)
	v_add_f64_e32 v[58:59], v[58:59], v[82:83]
	v_mul_f64_e32 v[80:81], s[34:35], v[29:30]
	v_mul_f64_e32 v[82:83], s[34:35], v[96:97]
	;; [unrolled: 1-line block ×4, first 2 shown]
	v_add_f64_e32 v[25:26], v[27:28], v[25:26]
	v_fma_f64 v[27:28], v[104:105], s[14:15], v[126:127]
	s_delay_alu instid0(VALU_DEP_1) | instskip(SKIP_1) | instid1(VALU_DEP_1)
	v_add_f64_e32 v[27:28], v[27:28], v[60:61]
	v_mul_f64_e32 v[60:61], s[16:17], v[66:67]
	v_fma_f64 v[52:53], v[92:93], s[2:3], -v[60:61]
	v_fma_f64 v[60:61], v[92:93], s[2:3], v[60:61]
	s_delay_alu instid0(VALU_DEP_2) | instskip(SKIP_1) | instid1(VALU_DEP_1)
	v_add_f64_e32 v[25:26], v[52:53], v[25:26]
	v_fma_f64 v[52:53], v[94:95], s[2:3], v[128:129]
	v_add_f64_e32 v[27:28], v[52:53], v[27:28]
	v_fma_f64 v[52:53], v[12:13], s[12:13], -v[130:131]
	s_delay_alu instid0(VALU_DEP_1) | instskip(SKIP_1) | instid1(VALU_DEP_1)
	v_add_f64_e32 v[25:26], v[52:53], v[25:26]
	v_fma_f64 v[52:53], v[14:15], s[12:13], v[132:133]
	v_add_f64_e32 v[27:28], v[52:53], v[27:28]
	v_fma_f64 v[52:53], v[8:9], s[18:19], -v[134:135]
	s_delay_alu instid0(VALU_DEP_1) | instskip(SKIP_1) | instid1(VALU_DEP_1)
	;; [unrolled: 5-line block ×3, first 2 shown]
	v_add_f64_e32 v[25:26], v[52:53], v[25:26]
	v_fma_f64 v[52:53], v[2:3], s[30:31], v[140:141]
	v_add_f64_e32 v[27:28], v[52:53], v[27:28]
	v_fma_f64 v[52:53], v[98:99], s[2:3], -v[142:143]
	s_delay_alu instid0(VALU_DEP_1) | instskip(NEXT) | instid1(VALU_DEP_1)
	v_add_f64_e32 v[52:53], v[52:53], v[78:79]
	v_add_f64_e32 v[52:53], v[56:57], v[52:53]
	v_fma_f64 v[56:57], v[94:95], s[14:15], v[148:149]
	s_delay_alu instid0(VALU_DEP_1) | instskip(SKIP_1) | instid1(VALU_DEP_1)
	v_add_f64_e32 v[54:55], v[56:57], v[54:55]
	v_fma_f64 v[56:57], v[12:13], s[30:31], -v[150:151]
	v_add_f64_e32 v[52:53], v[56:57], v[52:53]
	v_fma_f64 v[56:57], v[14:15], s[30:31], v[152:153]
	s_delay_alu instid0(VALU_DEP_1) | instskip(SKIP_1) | instid1(VALU_DEP_1)
	v_add_f64_e32 v[54:55], v[56:57], v[54:55]
	v_fma_f64 v[56:57], v[8:9], s[20:21], -v[154:155]
	v_add_f64_e32 v[52:53], v[56:57], v[52:53]
	v_fma_f64 v[56:57], v[10:11], s[20:21], v[156:157]
	s_delay_alu instid0(VALU_DEP_1) | instskip(SKIP_1) | instid1(VALU_DEP_1)
	v_add_f64_e32 v[54:55], v[56:57], v[54:55]
	v_fma_f64 v[56:57], v[0:1], s[12:13], -v[158:159]
	v_add_f64_e32 v[52:53], v[56:57], v[52:53]
	v_fma_f64 v[56:57], v[2:3], s[12:13], v[160:161]
	s_delay_alu instid0(VALU_DEP_1) | instskip(SKIP_1) | instid1(VALU_DEP_1)
	v_add_f64_e32 v[54:55], v[56:57], v[54:55]
	v_fma_f64 v[56:57], v[98:99], s[12:13], -v[162:163]
	v_add_f64_e32 v[56:57], v[56:57], v[72:73]
	v_fma_f64 v[72:73], v[92:93], s[30:31], -v[166:167]
	s_delay_alu instid0(VALU_DEP_1) | instskip(SKIP_1) | instid1(VALU_DEP_1)
	v_add_f64_e32 v[56:57], v[72:73], v[56:57]
	v_fma_f64 v[72:73], v[94:95], s[30:31], v[168:169]
	v_add_f64_e32 v[58:59], v[72:73], v[58:59]
	v_fma_f64 v[72:73], v[12:13], s[18:19], -v[170:171]
	s_delay_alu instid0(VALU_DEP_1) | instskip(SKIP_1) | instid1(VALU_DEP_1)
	v_add_f64_e32 v[56:57], v[72:73], v[56:57]
	v_fma_f64 v[72:73], v[14:15], s[18:19], v[172:173]
	;; [unrolled: 5-line block ×5, first 2 shown]
	v_add_f64_e32 v[74:75], v[74:75], v[84:85]
	v_mul_f64_e32 v[84:85], s[28:29], v[66:67]
	s_delay_alu instid0(VALU_DEP_1) | instskip(SKIP_1) | instid1(VALU_DEP_2)
	v_fma_f64 v[78:79], v[92:93], s[20:21], -v[84:85]
	v_fma_f64 v[84:85], v[92:93], s[20:21], v[84:85]
	v_add_f64_e32 v[72:73], v[78:79], v[72:73]
	v_fma_f64 v[78:79], v[94:95], s[20:21], v[186:187]
	s_delay_alu instid0(VALU_DEP_1) | instskip(SKIP_1) | instid1(VALU_DEP_1)
	v_add_f64_e32 v[74:75], v[78:79], v[74:75]
	v_fma_f64 v[78:79], v[12:13], s[2:3], -v[188:189]
	v_add_f64_e32 v[72:73], v[78:79], v[72:73]
	v_fma_f64 v[78:79], v[14:15], s[2:3], v[190:191]
	s_delay_alu instid0(VALU_DEP_1) | instskip(SKIP_1) | instid1(VALU_DEP_1)
	v_add_f64_e32 v[74:75], v[78:79], v[74:75]
	v_fma_f64 v[78:79], v[8:9], s[30:31], -v[192:193]
	;; [unrolled: 5-line block ×3, first 2 shown]
	v_add_f64_e32 v[72:73], v[78:79], v[72:73]
	v_fma_f64 v[78:79], v[2:3], s[14:15], v[198:199]
	s_delay_alu instid0(VALU_DEP_1) | instskip(SKIP_2) | instid1(VALU_DEP_2)
	v_add_f64_e32 v[74:75], v[78:79], v[74:75]
	v_fma_f64 v[78:79], v[98:99], s[30:31], -v[80:81]
	v_fma_f64 v[80:81], v[98:99], s[30:31], v[80:81]
	v_add_f64_e32 v[76:77], v[78:79], v[76:77]
	v_fma_f64 v[78:79], v[104:105], s[30:31], v[82:83]
	s_delay_alu instid0(VALU_DEP_3) | instskip(SKIP_1) | instid1(VALU_DEP_3)
	v_add_f64_e32 v[80:81], v[80:81], v[114:115]
	v_fma_f64 v[82:83], v[104:105], s[30:31], -v[82:83]
	v_add_f64_e32 v[78:79], v[78:79], v[88:89]
	v_mul_f64_e32 v[88:89], s[22:23], v[66:67]
	s_delay_alu instid0(VALU_DEP_3) | instskip(SKIP_1) | instid1(VALU_DEP_3)
	v_add_f64_e32 v[82:83], v[82:83], v[116:117]
	v_mul_f64_e32 v[66:67], s[26:27], v[66:67]
                                        ; implicit-def: $vgpr116_vgpr117
	v_fma_f64 v[200:201], v[92:93], s[12:13], -v[88:89]
	v_fma_f64 v[88:89], v[92:93], s[12:13], v[88:89]
	s_delay_alu instid0(VALU_DEP_2) | instskip(SKIP_1) | instid1(VALU_DEP_3)
	v_add_f64_e32 v[76:77], v[200:201], v[76:77]
	v_mul_f64_e32 v[200:201], s[22:23], v[64:65]
	v_add_f64_e32 v[80:81], v[88:89], v[80:81]
	v_mul_f64_e32 v[64:65], s[26:27], v[64:65]
	s_delay_alu instid0(VALU_DEP_3) | instskip(SKIP_1) | instid1(VALU_DEP_2)
	v_fma_f64 v[202:203], v[94:95], s[12:13], v[200:201]
	v_fma_f64 v[88:89], v[94:95], s[12:13], -v[200:201]
	v_add_f64_e32 v[78:79], v[202:203], v[78:79]
	v_mul_f64_e32 v[202:203], s[40:41], v[70:71]
	s_delay_alu instid0(VALU_DEP_3) | instskip(SKIP_1) | instid1(VALU_DEP_3)
	v_add_f64_e32 v[82:83], v[88:89], v[82:83]
	v_mul_f64_e32 v[70:71], s[24:25], v[70:71]
	v_fma_f64 v[204:205], v[12:13], s[20:21], -v[202:203]
	v_fma_f64 v[88:89], v[12:13], s[20:21], v[202:203]
	s_delay_alu instid0(VALU_DEP_2) | instskip(SKIP_1) | instid1(VALU_DEP_3)
	v_add_f64_e32 v[76:77], v[204:205], v[76:77]
	v_mul_f64_e32 v[204:205], s[40:41], v[68:69]
	v_add_f64_e32 v[80:81], v[88:89], v[80:81]
	v_mul_f64_e32 v[68:69], s[24:25], v[68:69]
	s_delay_alu instid0(VALU_DEP_3) | instskip(SKIP_1) | instid1(VALU_DEP_2)
	v_fma_f64 v[206:207], v[14:15], s[20:21], v[204:205]
	v_fma_f64 v[88:89], v[14:15], s[20:21], -v[204:205]
	v_add_f64_e32 v[78:79], v[206:207], v[78:79]
	v_mul_f64_e32 v[206:207], s[24:25], v[18:19]
	s_delay_alu instid0(VALU_DEP_3) | instskip(SKIP_1) | instid1(VALU_DEP_3)
	v_add_f64_e32 v[82:83], v[88:89], v[82:83]
	v_mul_f64_e32 v[18:19], s[22:23], v[18:19]
	v_fma_f64 v[209:210], v[8:9], s[14:15], -v[206:207]
	v_fma_f64 v[88:89], v[8:9], s[14:15], v[206:207]
	s_delay_alu instid0(VALU_DEP_2) | instskip(SKIP_1) | instid1(VALU_DEP_3)
	v_add_f64_e32 v[76:77], v[209:210], v[76:77]
	v_mul_f64_e32 v[209:210], s[24:25], v[16:17]
	v_add_f64_e32 v[80:81], v[88:89], v[80:81]
	v_mul_f64_e32 v[16:17], s[22:23], v[16:17]
	s_delay_alu instid0(VALU_DEP_3) | instskip(SKIP_1) | instid1(VALU_DEP_2)
	v_fma_f64 v[211:212], v[10:11], s[14:15], v[209:210]
	v_fma_f64 v[88:89], v[10:11], s[14:15], -v[209:210]
	v_add_f64_e32 v[78:79], v[211:212], v[78:79]
	v_mul_f64_e32 v[211:212], s[36:37], v[6:7]
	s_delay_alu instid0(VALU_DEP_3) | instskip(NEXT) | instid1(VALU_DEP_2)
	v_add_f64_e32 v[82:83], v[88:89], v[82:83]
	v_fma_f64 v[88:89], v[0:1], s[18:19], v[211:212]
	v_fma_f64 v[213:214], v[0:1], s[18:19], -v[211:212]
	s_delay_alu instid0(VALU_DEP_2) | instskip(SKIP_1) | instid1(VALU_DEP_3)
	v_add_f64_e32 v[80:81], v[88:89], v[80:81]
	v_fma_f64 v[88:89], v[98:99], s[18:19], v[182:183]
	v_add_f64_e32 v[76:77], v[213:214], v[76:77]
	v_mul_f64_e32 v[213:214], s[36:37], v[4:5]
	s_delay_alu instid0(VALU_DEP_3) | instskip(SKIP_1) | instid1(VALU_DEP_3)
	v_add_f64_e32 v[86:87], v[88:89], v[86:87]
	v_fma_f64 v[88:89], v[104:105], s[18:19], -v[184:185]
	v_fma_f64 v[215:216], v[2:3], s[18:19], v[213:214]
	v_fma_f64 v[114:115], v[2:3], s[18:19], -v[213:214]
	s_delay_alu instid0(VALU_DEP_4) | instskip(NEXT) | instid1(VALU_DEP_4)
	v_add_f64_e32 v[84:85], v[84:85], v[86:87]
	v_add_f64_e32 v[88:89], v[88:89], v[106:107]
	v_fma_f64 v[86:87], v[94:95], s[20:21], -v[186:187]
	v_fma_f64 v[106:107], v[2:3], s[14:15], -v[198:199]
	v_add_f64_e32 v[78:79], v[215:216], v[78:79]
	v_add_f64_e32 v[82:83], v[114:115], v[82:83]
	s_delay_alu instid0(VALU_DEP_4) | instskip(SKIP_1) | instid1(VALU_DEP_1)
	v_add_f64_e32 v[86:87], v[86:87], v[88:89]
	v_fma_f64 v[88:89], v[12:13], s[2:3], v[188:189]
	v_add_f64_e32 v[84:85], v[88:89], v[84:85]
	v_fma_f64 v[88:89], v[14:15], s[2:3], -v[190:191]
	s_delay_alu instid0(VALU_DEP_1) | instskip(SKIP_1) | instid1(VALU_DEP_1)
	v_add_f64_e32 v[86:87], v[88:89], v[86:87]
	v_fma_f64 v[88:89], v[8:9], s[30:31], v[192:193]
	v_add_f64_e32 v[84:85], v[88:89], v[84:85]
	v_fma_f64 v[88:89], v[10:11], s[30:31], -v[194:195]
	s_delay_alu instid0(VALU_DEP_1) | instskip(SKIP_1) | instid1(VALU_DEP_2)
	v_add_f64_e32 v[86:87], v[88:89], v[86:87]
	v_fma_f64 v[88:89], v[0:1], s[14:15], v[196:197]
	v_add_f64_e32 v[86:87], v[106:107], v[86:87]
	s_delay_alu instid0(VALU_DEP_2) | instskip(SKIP_2) | instid1(VALU_DEP_2)
	v_add_f64_e32 v[84:85], v[88:89], v[84:85]
	v_fma_f64 v[88:89], v[98:99], s[12:13], v[162:163]
	v_fma_f64 v[106:107], v[2:3], s[20:21], -v[180:181]
	v_add_f64_e32 v[88:89], v[88:89], v[90:91]
	v_fma_f64 v[90:91], v[104:105], s[12:13], -v[164:165]
	s_delay_alu instid0(VALU_DEP_1) | instskip(SKIP_1) | instid1(VALU_DEP_1)
	v_add_f64_e32 v[90:91], v[90:91], v[102:103]
	v_fma_f64 v[102:103], v[92:93], s[30:31], v[166:167]
	v_add_f64_e32 v[88:89], v[102:103], v[88:89]
	v_fma_f64 v[102:103], v[94:95], s[30:31], -v[168:169]
	s_delay_alu instid0(VALU_DEP_1) | instskip(SKIP_1) | instid1(VALU_DEP_1)
	v_add_f64_e32 v[90:91], v[102:103], v[90:91]
	v_fma_f64 v[102:103], v[12:13], s[18:19], v[170:171]
	v_add_f64_e32 v[88:89], v[102:103], v[88:89]
	v_fma_f64 v[102:103], v[14:15], s[18:19], -v[172:173]
	s_delay_alu instid0(VALU_DEP_1) | instskip(SKIP_1) | instid1(VALU_DEP_1)
	v_add_f64_e32 v[90:91], v[102:103], v[90:91]
	v_fma_f64 v[102:103], v[8:9], s[2:3], v[174:175]
	v_add_f64_e32 v[88:89], v[102:103], v[88:89]
	v_fma_f64 v[102:103], v[10:11], s[2:3], -v[176:177]
	s_delay_alu instid0(VALU_DEP_1) | instskip(SKIP_1) | instid1(VALU_DEP_2)
	v_add_f64_e32 v[90:91], v[102:103], v[90:91]
	v_fma_f64 v[102:103], v[0:1], s[20:21], v[178:179]
	v_add_f64_e32 v[90:91], v[106:107], v[90:91]
	s_delay_alu instid0(VALU_DEP_2) | instskip(SKIP_2) | instid1(VALU_DEP_2)
	v_add_f64_e32 v[88:89], v[102:103], v[88:89]
	v_fma_f64 v[102:103], v[98:99], s[2:3], v[142:143]
	v_fma_f64 v[106:107], v[104:105], s[2:3], -v[144:145]
	v_add_f64_e32 v[102:103], v[102:103], v[112:113]
	s_delay_alu instid0(VALU_DEP_2) | instskip(SKIP_2) | instid1(VALU_DEP_2)
	v_add_f64_e32 v[100:101], v[106:107], v[100:101]
	v_fma_f64 v[106:107], v[92:93], s[14:15], v[146:147]
	v_fma_f64 v[112:113], v[2:3], s[12:13], -v[160:161]
	v_add_f64_e32 v[102:103], v[106:107], v[102:103]
	v_fma_f64 v[106:107], v[94:95], s[14:15], -v[148:149]
	s_delay_alu instid0(VALU_DEP_1) | instskip(SKIP_1) | instid1(VALU_DEP_1)
	v_add_f64_e32 v[100:101], v[106:107], v[100:101]
	v_fma_f64 v[106:107], v[12:13], s[30:31], v[150:151]
	v_add_f64_e32 v[102:103], v[106:107], v[102:103]
	v_fma_f64 v[106:107], v[14:15], s[30:31], -v[152:153]
	s_delay_alu instid0(VALU_DEP_1) | instskip(SKIP_1) | instid1(VALU_DEP_1)
	v_add_f64_e32 v[100:101], v[106:107], v[100:101]
	v_fma_f64 v[106:107], v[8:9], s[20:21], v[154:155]
	;; [unrolled: 5-line block ×3, first 2 shown]
	v_add_f64_e32 v[100:101], v[100:101], v[102:103]
	s_delay_alu instid0(VALU_DEP_3) | instskip(SKIP_2) | instid1(VALU_DEP_2)
	v_add_f64_e32 v[102:103], v[112:113], v[106:107]
	v_fma_f64 v[106:107], v[98:99], s[14:15], v[118:119]
	v_mul_f64_e32 v[112:113], s[16:17], v[4:5]
	v_add_f64_e32 v[62:63], v[106:107], v[62:63]
	v_fma_f64 v[106:107], v[104:105], s[14:15], -v[126:127]
	s_delay_alu instid0(VALU_DEP_2) | instskip(NEXT) | instid1(VALU_DEP_2)
	v_add_f64_e32 v[60:61], v[60:61], v[62:63]
	v_add_f64_e32 v[106:107], v[106:107], v[110:111]
	v_fma_f64 v[62:63], v[94:95], s[2:3], -v[128:129]
	v_fma_f64 v[110:111], v[2:3], s[30:31], -v[140:141]
	s_delay_alu instid0(VALU_DEP_2) | instskip(SKIP_1) | instid1(VALU_DEP_1)
	v_add_f64_e32 v[62:63], v[62:63], v[106:107]
	v_fma_f64 v[106:107], v[12:13], s[12:13], v[130:131]
	v_add_f64_e32 v[60:61], v[106:107], v[60:61]
	v_fma_f64 v[106:107], v[14:15], s[12:13], -v[132:133]
	s_delay_alu instid0(VALU_DEP_1) | instskip(SKIP_1) | instid1(VALU_DEP_1)
	v_add_f64_e32 v[62:63], v[106:107], v[62:63]
	v_fma_f64 v[106:107], v[8:9], s[18:19], v[134:135]
	v_add_f64_e32 v[60:61], v[106:107], v[60:61]
	v_fma_f64 v[106:107], v[10:11], s[18:19], -v[136:137]
	s_delay_alu instid0(VALU_DEP_1) | instskip(SKIP_1) | instid1(VALU_DEP_2)
	v_add_f64_e32 v[62:63], v[106:107], v[62:63]
	v_fma_f64 v[106:107], v[0:1], s[30:31], v[138:139]
	v_add_f64_e32 v[62:63], v[110:111], v[62:63]
	s_delay_alu instid0(VALU_DEP_2) | instskip(SKIP_4) | instid1(VALU_DEP_4)
	v_add_f64_e32 v[60:61], v[106:107], v[60:61]
	v_fma_f64 v[106:107], v[98:99], s[20:21], -v[29:30]
	v_fma_f64 v[110:111], v[104:105], s[20:21], v[96:97]
	v_fma_f64 v[29:30], v[98:99], s[20:21], v[29:30]
	v_fma_f64 v[96:97], v[104:105], s[20:21], -v[96:97]
	v_add_f64_e32 v[106:107], v[106:107], v[120:121]
	s_delay_alu instid0(VALU_DEP_4) | instskip(SKIP_4) | instid1(VALU_DEP_4)
	v_add_f64_e32 v[108:109], v[110:111], v[108:109]
	v_fma_f64 v[110:111], v[92:93], s[18:19], -v[66:67]
	v_fma_f64 v[66:67], v[92:93], s[18:19], v[66:67]
	v_add_f64_e32 v[29:30], v[29:30], v[122:123]
	v_add_f64_e32 v[92:93], v[96:97], v[124:125]
	;; [unrolled: 1-line block ×3, first 2 shown]
	v_fma_f64 v[110:111], v[94:95], s[18:19], v[64:65]
	v_fma_f64 v[64:65], v[94:95], s[18:19], -v[64:65]
	v_add_f64_e32 v[29:30], v[66:67], v[29:30]
	s_delay_alu instid0(VALU_DEP_3) | instskip(SKIP_3) | instid1(VALU_DEP_3)
	v_add_f64_e32 v[108:109], v[110:111], v[108:109]
	v_fma_f64 v[110:111], v[12:13], s[14:15], -v[70:71]
	v_fma_f64 v[12:13], v[12:13], s[14:15], v[70:71]
	v_add_f64_e32 v[64:65], v[64:65], v[92:93]
	v_add_f64_e32 v[106:107], v[110:111], v[106:107]
	v_fma_f64 v[110:111], v[14:15], s[14:15], v[68:69]
	v_fma_f64 v[14:15], v[14:15], s[14:15], -v[68:69]
	v_add_f64_e32 v[12:13], v[12:13], v[29:30]
	s_delay_alu instid0(VALU_DEP_3) | instskip(SKIP_3) | instid1(VALU_DEP_3)
	v_add_f64_e32 v[108:109], v[110:111], v[108:109]
	v_fma_f64 v[110:111], v[8:9], s[12:13], -v[18:19]
	v_fma_f64 v[8:9], v[8:9], s[12:13], v[18:19]
	v_add_f64_e32 v[14:15], v[14:15], v[64:65]
	v_add_f64_e32 v[106:107], v[110:111], v[106:107]
	v_fma_f64 v[110:111], v[10:11], s[12:13], v[16:17]
	v_fma_f64 v[10:11], v[10:11], s[12:13], -v[16:17]
	v_add_f64_e32 v[8:9], v[8:9], v[12:13]
	s_delay_alu instid0(VALU_DEP_3) | instskip(SKIP_4) | instid1(VALU_DEP_4)
	v_add_f64_e32 v[108:109], v[110:111], v[108:109]
	v_mul_f64_e32 v[110:111], s[16:17], v[6:7]
	v_fma_f64 v[6:7], v[2:3], s[2:3], v[112:113]
	v_fma_f64 v[2:3], v[2:3], s[2:3], -v[112:113]
	v_add_f64_e32 v[10:11], v[10:11], v[14:15]
                                        ; implicit-def: $vgpr112_vgpr113
	v_fma_f64 v[4:5], v[0:1], s[2:3], -v[110:111]
	v_fma_f64 v[0:1], v[0:1], s[2:3], v[110:111]
	v_add_f64_e32 v[6:7], v[6:7], v[108:109]
	s_delay_alu instid0(VALU_DEP_4)
	v_add_f64_e32 v[66:67], v[2:3], v[10:11]
	v_add_co_u32 v164, s2, s8, v225
	s_wait_alu 0xf1ff
	v_add_co_ci_u32_e64 v165, null, s9, 0, s2
	v_add_f64_e32 v[4:5], v[4:5], v[106:107]
	v_add_f64_e32 v[64:65], v[0:1], v[8:9]
	v_mul_lo_u16 v0, v20, 13
	s_delay_alu instid0(VALU_DEP_1) | instskip(NEXT) | instid1(VALU_DEP_1)
	v_and_b32_e32 v0, 0xffff, v0
	v_lshl_add_u32 v226, v0, 4, v31
	ds_store_b128 v226, v[25:28] offset:32
	ds_store_b128 v226, v[52:55] offset:48
	ds_store_b128 v226, v[56:59] offset:64
	ds_store_b128 v226, v[72:75] offset:80
	ds_store_b128 v226, v[76:79] offset:96
	ds_store_b128 v226, v[80:83] offset:112
	ds_store_b128 v226, v[84:87] offset:128
	ds_store_b128 v226, v[88:91] offset:144
	ds_store_b128 v226, v[4:7] offset:16
	ds_store_b128 v226, v[21:24]
	ds_store_b128 v226, v[100:103] offset:160
	ds_store_b128 v226, v[60:63] offset:176
	;; [unrolled: 1-line block ×3, first 2 shown]
	global_wb scope:SCOPE_SE
	s_wait_dscnt 0x0
	s_barrier_signal -1
	s_barrier_wait -1
	global_inv scope:SCOPE_SE
	ds_load_b128 v[108:111], v255
	ds_load_b128 v[104:107], v255 offset:1040
	ds_load_b128 v[80:83], v255 offset:2704
	;; [unrolled: 1-line block ×9, first 2 shown]
	s_and_saveexec_b32 s2, vcc_lo
	s_cbranch_execz .LBB0_3
; %bb.2:
	ds_load_b128 v[100:103], v255 offset:2080
	ds_load_b128 v[60:63], v255 offset:4784
	;; [unrolled: 1-line block ×5, first 2 shown]
.LBB0_3:
	s_wait_alu 0xfffe
	s_or_b32 exec_lo, exec_lo, s2
	v_and_b32_e32 v0, 0xff, v39
	s_mov_b32 s12, 0x134454ff
	s_mov_b32 s13, 0x3fee6f0e
	;; [unrolled: 1-line block ×3, first 2 shown]
	s_wait_alu 0xfffe
	s_mov_b32 s16, s12
	v_mul_lo_u16 v0, 0x4f, v0
	s_mov_b32 s2, 0x4755a5e
	s_mov_b32 s3, 0x3fe2cf23
	;; [unrolled: 1-line block ×3, first 2 shown]
	s_wait_alu 0xfffe
	s_mov_b32 s18, s2
	v_lshrrev_b16 v16, 10, v0
	s_mov_b32 s14, 0x372fe950
	s_mov_b32 s15, 0x3fd3c6ef
	s_delay_alu instid0(VALU_DEP_1) | instskip(SKIP_1) | instid1(VALU_DEP_2)
	v_mul_lo_u16 v0, v16, 13
	v_and_b32_e32 v16, 0xffff, v16
	v_sub_nc_u16 v0, v39, v0
	s_delay_alu instid0(VALU_DEP_2) | instskip(NEXT) | instid1(VALU_DEP_2)
	v_mul_u32_u24_e32 v16, 0x41, v16
	v_and_b32_e32 v17, 0xff, v0
	s_delay_alu instid0(VALU_DEP_1) | instskip(NEXT) | instid1(VALU_DEP_3)
	v_lshlrev_b32_e32 v2, 6, v17
	v_add_nc_u32_e32 v16, v16, v17
	s_clause 0x1
	global_load_b128 v[68:71], v2, s[10:11]
	global_load_b128 v[72:75], v2, s[10:11] offset:16
	s_wait_loadcnt_dscnt 0x107
	v_mul_f64_e32 v[0:1], v[82:83], v[70:71]
	s_delay_alu instid0(VALU_DEP_1) | instskip(SKIP_1) | instid1(VALU_DEP_1)
	v_fma_f64 v[28:29], v[80:81], v[68:69], -v[0:1]
	v_mul_f64_e32 v[0:1], v[80:81], v[70:71]
	v_fma_f64 v[30:31], v[82:83], v[68:69], v[0:1]
	s_wait_loadcnt_dscnt 0x5
	v_mul_f64_e32 v[0:1], v[78:79], v[74:75]
	s_delay_alu instid0(VALU_DEP_1) | instskip(SKIP_1) | instid1(VALU_DEP_2)
	v_fma_f64 v[120:121], v[76:77], v[72:73], -v[0:1]
	v_mul_f64_e32 v[0:1], v[76:77], v[74:75]
	v_add_f64_e64 v[20:21], v[28:29], -v[120:121]
	s_delay_alu instid0(VALU_DEP_2)
	v_fma_f64 v[122:123], v[78:79], v[72:73], v[0:1]
	s_clause 0x1
	global_load_b128 v[76:79], v2, s[10:11] offset:32
	global_load_b128 v[80:83], v2, s[10:11] offset:48
	v_add_f64_e64 v[153:154], v[120:121], -v[28:29]
	s_wait_loadcnt_dscnt 0x103
	v_mul_f64_e32 v[0:1], v[90:91], v[78:79]
	s_delay_alu instid0(VALU_DEP_1) | instskip(SKIP_1) | instid1(VALU_DEP_2)
	v_fma_f64 v[125:126], v[88:89], v[76:77], -v[0:1]
	v_mul_f64_e32 v[0:1], v[88:89], v[78:79]
	v_add_f64_e64 v[151:152], v[120:121], -v[125:126]
	s_delay_alu instid0(VALU_DEP_2) | instskip(SKIP_2) | instid1(VALU_DEP_1)
	v_fma_f64 v[127:128], v[90:91], v[76:77], v[0:1]
	s_wait_loadcnt_dscnt 0x1
	v_mul_f64_e32 v[0:1], v[86:87], v[82:83]
	v_fma_f64 v[129:130], v[84:85], v[80:81], -v[0:1]
	v_mul_f64_e32 v[0:1], v[84:85], v[82:83]
	s_delay_alu instid0(VALU_DEP_2) | instskip(NEXT) | instid1(VALU_DEP_2)
	v_add_f64_e64 v[22:23], v[129:130], -v[125:126]
	v_fma_f64 v[131:132], v[86:87], v[80:81], v[0:1]
	v_add_nc_u16 v0, v39, 0x41
	v_add_f64_e64 v[149:150], v[28:29], -v[129:130]
	s_delay_alu instid0(VALU_DEP_2) | instskip(NEXT) | instid1(VALU_DEP_1)
	v_and_b32_e32 v1, 0xff, v0
	v_mul_lo_u16 v1, 0x4f, v1
	s_delay_alu instid0(VALU_DEP_1) | instskip(NEXT) | instid1(VALU_DEP_1)
	v_lshrrev_b16 v18, 10, v1
	v_mul_lo_u16 v1, v18, 13
	s_delay_alu instid0(VALU_DEP_1) | instskip(NEXT) | instid1(VALU_DEP_1)
	v_sub_nc_u16 v0, v0, v1
	v_and_b32_e32 v19, 0xff, v0
	s_delay_alu instid0(VALU_DEP_1)
	v_lshlrev_b32_e32 v2, 6, v19
	s_clause 0x1
	global_load_b128 v[84:87], v2, s[10:11]
	global_load_b128 v[88:91], v2, s[10:11] offset:16
	v_add_f64_e32 v[24:25], v[20:21], v[22:23]
	v_add_f64_e64 v[20:21], v[30:31], -v[122:123]
	v_add_f64_e64 v[22:23], v[131:132], -v[127:128]
	s_delay_alu instid0(VALU_DEP_1) | instskip(SKIP_3) | instid1(VALU_DEP_1)
	v_add_f64_e32 v[26:27], v[20:21], v[22:23]
	v_add_f64_e32 v[20:21], v[120:121], v[125:126]
	s_wait_loadcnt 0x1
	v_mul_f64_e32 v[0:1], v[98:99], v[86:87]
	v_fma_f64 v[133:134], v[96:97], v[84:85], -v[0:1]
	v_mul_f64_e32 v[0:1], v[96:97], v[86:87]
	s_delay_alu instid0(VALU_DEP_1) | instskip(SKIP_2) | instid1(VALU_DEP_1)
	v_fma_f64 v[135:136], v[98:99], v[84:85], v[0:1]
	s_wait_loadcnt 0x0
	v_mul_f64_e32 v[0:1], v[94:95], v[90:91]
	v_fma_f64 v[137:138], v[92:93], v[88:89], -v[0:1]
	v_mul_f64_e32 v[0:1], v[92:93], v[90:91]
	s_delay_alu instid0(VALU_DEP_1)
	v_fma_f64 v[139:140], v[94:95], v[88:89], v[0:1]
	s_clause 0x1
	global_load_b128 v[92:95], v2, s[10:11] offset:32
	global_load_b128 v[96:99], v2, s[10:11] offset:48
	s_wait_loadcnt 0x1
	v_mul_f64_e32 v[0:1], v[58:59], v[94:95]
	s_delay_alu instid0(VALU_DEP_1) | instskip(SKIP_1) | instid1(VALU_DEP_1)
	v_fma_f64 v[141:142], v[56:57], v[92:93], -v[0:1]
	v_mul_f64_e32 v[0:1], v[56:57], v[94:95]
	v_fma_f64 v[143:144], v[58:59], v[92:93], v[0:1]
	s_wait_loadcnt_dscnt 0x0
	v_mul_f64_e32 v[0:1], v[54:55], v[98:99]
	s_delay_alu instid0(VALU_DEP_1) | instskip(SKIP_1) | instid1(VALU_DEP_1)
	v_fma_f64 v[145:146], v[52:53], v[96:97], -v[0:1]
	v_mul_f64_e32 v[0:1], v[52:53], v[98:99]
	v_fma_f64 v[147:148], v[54:55], v[96:97], v[0:1]
	v_add_nc_u16 v0, v39, 0x82
	s_delay_alu instid0(VALU_DEP_1) | instskip(NEXT) | instid1(VALU_DEP_1)
	v_and_b32_e32 v1, 0xff, v0
	v_mul_lo_u16 v1, 0x4f, v1
	s_delay_alu instid0(VALU_DEP_1) | instskip(NEXT) | instid1(VALU_DEP_1)
	v_lshrrev_b16 v124, 10, v1
	v_mul_lo_u16 v1, v124, 13
	v_and_b32_e32 v32, 0xffff, v124
	s_delay_alu instid0(VALU_DEP_2) | instskip(NEXT) | instid1(VALU_DEP_1)
	v_sub_nc_u16 v0, v0, v1
	v_and_b32_e32 v0, 0xff, v0
	s_delay_alu instid0(VALU_DEP_1)
	v_lshlrev_b32_e32 v4, 6, v0
	scratch_store_b32 off, v0, off offset:216 ; 4-byte Folded Spill
	s_clause 0x1
	global_load_b128 v[52:55], v4, s[10:11]
	global_load_b128 v[56:59], v4, s[10:11] offset:16
	s_wait_loadcnt 0x1
	v_mul_f64_e32 v[0:1], v[62:63], v[54:55]
	s_delay_alu instid0(VALU_DEP_1) | instskip(SKIP_1) | instid1(VALU_DEP_1)
	v_fma_f64 v[12:13], v[60:61], v[52:53], -v[0:1]
	v_mul_f64_e32 v[0:1], v[60:61], v[54:55]
	v_fma_f64 v[14:15], v[62:63], v[52:53], v[0:1]
	s_wait_loadcnt 0x0
	v_mul_f64_e32 v[0:1], v[66:67], v[58:59]
	s_delay_alu instid0(VALU_DEP_1) | instskip(SKIP_1) | instid1(VALU_DEP_1)
	v_fma_f64 v[2:3], v[64:65], v[56:57], -v[0:1]
	v_mul_f64_e32 v[0:1], v[64:65], v[58:59]
	v_fma_f64 v[8:9], v[66:67], v[56:57], v[0:1]
	s_clause 0x1
	global_load_b128 v[60:63], v4, s[10:11] offset:32
	global_load_b128 v[64:67], v4, s[10:11] offset:48
	scratch_load_b32 v17, off, off          ; 4-byte Folded Reload
	global_wb scope:SCOPE_SE
	s_wait_loadcnt 0x0
	s_wait_storecnt 0x0
	s_barrier_signal -1
	s_barrier_wait -1
	global_inv scope:SCOPE_SE
	v_mul_f64_e32 v[0:1], v[114:115], v[62:63]
	v_mul_f64_e32 v[6:7], v[116:117], v[66:67]
	v_lshl_add_u32 v218, v16, 4, v17
	v_and_b32_e32 v16, 0xffff, v18
	s_delay_alu instid0(VALU_DEP_1) | instskip(NEXT) | instid1(VALU_DEP_1)
	v_mul_u32_u24_e32 v16, 0x41, v16
	v_add_nc_u32_e32 v16, v16, v19
	s_delay_alu instid0(VALU_DEP_1)
	v_lshl_add_u32 v217, v16, 4, v17
	v_add_f64_e64 v[16:17], v[12:13], -v[2:3]
	v_fma_f64 v[4:5], v[112:113], v[60:61], -v[0:1]
	v_mul_f64_e32 v[0:1], v[112:113], v[62:63]
	v_fma_f64 v[112:113], v[20:21], -0.5, v[108:109]
	v_add_f64_e32 v[20:21], v[122:123], v[127:128]
	v_fma_f64 v[6:7], v[118:119], v[64:65], v[6:7]
	s_delay_alu instid0(VALU_DEP_4) | instskip(SKIP_1) | instid1(VALU_DEP_4)
	v_fma_f64 v[10:11], v[114:115], v[60:61], v[0:1]
	v_mul_f64_e32 v[0:1], v[118:119], v[66:67]
	v_fma_f64 v[114:115], v[20:21], -0.5, v[110:111]
	v_add_f64_e64 v[118:119], v[122:123], -v[127:128]
	s_delay_alu instid0(VALU_DEP_3) | instskip(SKIP_1) | instid1(VALU_DEP_4)
	v_fma_f64 v[0:1], v[116:117], v[64:65], -v[0:1]
	v_add_f64_e64 v[116:117], v[30:31], -v[131:132]
	v_fma_f64 v[22:23], v[149:150], s[16:17], v[114:115]
	v_fma_f64 v[114:115], v[149:150], s[12:13], v[114:115]
	s_delay_alu instid0(VALU_DEP_4) | instskip(NEXT) | instid1(VALU_DEP_4)
	v_add_f64_e64 v[18:19], v[0:1], -v[4:5]
	v_fma_f64 v[20:21], v[116:117], s[12:13], v[112:113]
	v_fma_f64 v[112:113], v[116:117], s[16:17], v[112:113]
	s_wait_alu 0xfffe
	v_fma_f64 v[22:23], v[151:152], s[18:19], v[22:23]
	v_fma_f64 v[114:115], v[151:152], s[2:3], v[114:115]
	v_add_f64_e32 v[16:17], v[16:17], v[18:19]
	v_fma_f64 v[20:21], v[118:119], s[2:3], v[20:21]
	v_fma_f64 v[112:113], v[118:119], s[18:19], v[112:113]
	;; [unrolled: 1-line block ×4, first 2 shown]
	v_add_f64_e32 v[114:115], v[30:31], v[131:132]
	v_add_f64_e64 v[18:19], v[2:3], -v[12:13]
	v_fma_f64 v[20:21], v[24:25], s[14:15], v[20:21]
	v_fma_f64 v[24:25], v[24:25], s[14:15], v[112:113]
	v_add_f64_e32 v[112:113], v[28:29], v[129:130]
	v_fma_f64 v[114:115], v[114:115], -0.5, v[110:111]
	v_add_f64_e32 v[110:111], v[110:111], v[30:31]
	s_delay_alu instid0(VALU_DEP_3) | instskip(SKIP_1) | instid1(VALU_DEP_1)
	v_fma_f64 v[112:113], v[112:113], -0.5, v[108:109]
	v_add_f64_e32 v[108:109], v[108:109], v[28:29]
	v_add_f64_e32 v[28:29], v[108:109], v[120:121]
	s_delay_alu instid0(VALU_DEP_4)
	v_add_f64_e32 v[108:109], v[110:111], v[122:123]
	v_add_f64_e64 v[110:111], v[122:123], -v[30:31]
	v_add_f64_e64 v[120:121], v[127:128], -v[131:132]
	v_fma_f64 v[122:123], v[118:119], s[16:17], v[112:113]
	v_fma_f64 v[112:113], v[118:119], s[12:13], v[112:113]
	;; [unrolled: 1-line block ×4, first 2 shown]
	v_add_f64_e64 v[151:152], v[137:138], -v[141:142]
	v_add_f64_e32 v[28:29], v[28:29], v[125:126]
	v_add_f64_e32 v[30:31], v[108:109], v[127:128]
	v_add_f64_e64 v[108:109], v[125:126], -v[129:130]
	v_add_f64_e32 v[120:121], v[110:111], v[120:121]
	v_fma_f64 v[112:113], v[116:117], s[18:19], v[112:113]
	v_fma_f64 v[110:111], v[149:150], s[18:19], v[118:119]
	;; [unrolled: 1-line block ×3, first 2 shown]
	v_add_f64_e64 v[118:119], v[145:146], -v[141:142]
	v_add_f64_e64 v[149:150], v[133:134], -v[145:146]
	v_add_f64_e32 v[28:29], v[28:29], v[129:130]
	v_add_f64_e64 v[129:130], v[135:136], -v[147:148]
	v_add_f64_e32 v[125:126], v[153:154], v[108:109]
	v_fma_f64 v[108:109], v[116:117], s[2:3], v[122:123]
	v_add_f64_e64 v[116:117], v[133:134], -v[137:138]
	v_add_f64_e32 v[30:31], v[30:31], v[131:132]
	v_fma_f64 v[110:111], v[120:121], s[14:15], v[110:111]
	v_fma_f64 v[114:115], v[120:121], s[14:15], v[114:115]
	v_add_f64_e64 v[131:132], v[139:140], -v[143:144]
	v_fma_f64 v[112:113], v[125:126], s[14:15], v[112:113]
	v_fma_f64 v[108:109], v[125:126], s[14:15], v[108:109]
	v_add_f64_e32 v[120:121], v[116:117], v[118:119]
	v_add_f64_e64 v[116:117], v[135:136], -v[139:140]
	v_add_f64_e64 v[118:119], v[147:148], -v[143:144]
	ds_store_b128 v218, v[28:31]
	ds_store_b128 v218, v[20:23] offset:208
	ds_store_b128 v218, v[108:111] offset:416
	;; [unrolled: 1-line block ×4, first 2 shown]
	v_add_f64_e64 v[20:21], v[4:5], -v[0:1]
	v_add_f64_e64 v[22:23], v[6:7], -v[10:11]
	;; [unrolled: 1-line block ×4, first 2 shown]
	v_add_f64_e32 v[122:123], v[116:117], v[118:119]
	v_add_f64_e32 v[116:117], v[137:138], v[141:142]
	;; [unrolled: 1-line block ×3, first 2 shown]
	v_add_f64_e64 v[30:31], v[8:9], -v[10:11]
	v_add_f64_e64 v[108:109], v[2:3], -v[4:5]
	v_add_f64_e32 v[18:19], v[18:19], v[20:21]
	v_add_f64_e64 v[20:21], v[14:15], -v[8:9]
	v_fma_f64 v[125:126], v[116:117], -0.5, v[104:105]
	v_add_f64_e32 v[116:117], v[139:140], v[143:144]
	v_fma_f64 v[26:27], v[26:27], -0.5, v[102:103]
	s_delay_alu instid0(VALU_DEP_4) | instskip(SKIP_1) | instid1(VALU_DEP_4)
	v_add_f64_e32 v[20:21], v[20:21], v[22:23]
	v_add_f64_e64 v[22:23], v[8:9], -v[14:15]
	v_fma_f64 v[127:128], v[116:117], -0.5, v[106:107]
	v_fma_f64 v[116:117], v[129:130], s[12:13], v[125:126]
	v_fma_f64 v[125:126], v[129:130], s[16:17], v[125:126]
	s_delay_alu instid0(VALU_DEP_4)
	v_add_f64_e32 v[22:23], v[22:23], v[24:25]
	v_add_f64_e32 v[24:25], v[2:3], v[4:5]
	v_fma_f64 v[118:119], v[149:150], s[16:17], v[127:128]
	v_fma_f64 v[127:128], v[149:150], s[12:13], v[127:128]
	;; [unrolled: 1-line block ×4, first 2 shown]
	v_fma_f64 v[24:25], v[24:25], -0.5, v[100:101]
	v_fma_f64 v[118:119], v[151:152], s[18:19], v[118:119]
	v_fma_f64 v[127:128], v[151:152], s[2:3], v[127:128]
	;; [unrolled: 1-line block ×4, first 2 shown]
	v_add_f64_e32 v[125:126], v[133:134], v[145:146]
	v_fma_f64 v[118:119], v[122:123], s[14:15], v[118:119]
	v_fma_f64 v[122:123], v[122:123], s[14:15], v[127:128]
	v_add_f64_e32 v[127:128], v[135:136], v[147:148]
	s_delay_alu instid0(VALU_DEP_4) | instskip(SKIP_2) | instid1(VALU_DEP_4)
	v_fma_f64 v[125:126], v[125:126], -0.5, v[104:105]
	v_add_f64_e32 v[104:105], v[104:105], v[133:134]
	v_add_f64_e64 v[133:134], v[137:138], -v[133:134]
	v_fma_f64 v[127:128], v[127:128], -0.5, v[106:107]
	v_add_f64_e32 v[106:107], v[106:107], v[135:136]
	v_add_f64_e64 v[135:136], v[139:140], -v[135:136]
	v_add_f64_e32 v[104:105], v[104:105], v[137:138]
	v_add_f64_e64 v[137:138], v[141:142], -v[145:146]
	s_delay_alu instid0(VALU_DEP_4) | instskip(SKIP_1) | instid1(VALU_DEP_4)
	v_add_f64_e32 v[106:107], v[106:107], v[139:140]
	v_add_f64_e64 v[139:140], v[143:144], -v[147:148]
	v_add_f64_e32 v[104:105], v[104:105], v[141:142]
	v_fma_f64 v[141:142], v[131:132], s[16:17], v[125:126]
	v_fma_f64 v[125:126], v[131:132], s[12:13], v[125:126]
	;; [unrolled: 1-line block ×4, first 2 shown]
	v_add_f64_e32 v[133:134], v[133:134], v[137:138]
	v_add_f64_e32 v[106:107], v[106:107], v[143:144]
	;; [unrolled: 1-line block ×4, first 2 shown]
	v_fma_f64 v[137:138], v[129:130], s[2:3], v[141:142]
	v_fma_f64 v[129:130], v[129:130], s[18:19], v[125:126]
	v_fma_f64 v[131:132], v[149:150], s[18:19], v[131:132]
	v_fma_f64 v[139:140], v[149:150], s[2:3], v[127:128]
	v_add_f64_e32 v[106:107], v[106:107], v[147:148]
	v_fma_f64 v[125:126], v[133:134], s[14:15], v[137:138]
	v_fma_f64 v[129:130], v[133:134], s[14:15], v[129:130]
	;; [unrolled: 1-line block ×4, first 2 shown]
	ds_store_b128 v217, v[104:107]
	ds_store_b128 v217, v[116:119] offset:208
	ds_store_b128 v217, v[125:128] offset:416
	;; [unrolled: 1-line block ×4, first 2 shown]
	v_fma_f64 v[104:105], v[28:29], s[16:17], v[24:25]
	scratch_store_b32 off, v32, off offset:220 ; 4-byte Folded Spill
	v_fma_f64 v[106:107], v[30:31], s[18:19], v[104:105]
	v_add_f64_e64 v[104:105], v[12:13], -v[0:1]
	s_delay_alu instid0(VALU_DEP_2) | instskip(NEXT) | instid1(VALU_DEP_2)
	v_fma_f64 v[116:117], v[16:17], s[14:15], v[106:107]
	v_fma_f64 v[110:111], v[104:105], s[12:13], v[26:27]
	v_add_f64_e32 v[106:107], v[12:13], v[0:1]
	s_delay_alu instid0(VALU_DEP_2) | instskip(NEXT) | instid1(VALU_DEP_2)
	v_fma_f64 v[110:111], v[108:109], s[2:3], v[110:111]
	v_fma_f64 v[106:107], v[106:107], -0.5, v[100:101]
	s_delay_alu instid0(VALU_DEP_2) | instskip(SKIP_1) | instid1(VALU_DEP_3)
	v_fma_f64 v[118:119], v[20:21], s[14:15], v[110:111]
	v_add_f64_e32 v[110:111], v[14:15], v[6:7]
	v_fma_f64 v[112:113], v[30:31], s[12:13], v[106:107]
	s_delay_alu instid0(VALU_DEP_2) | instskip(NEXT) | instid1(VALU_DEP_2)
	v_fma_f64 v[110:111], v[110:111], -0.5, v[102:103]
	v_fma_f64 v[112:113], v[28:29], s[18:19], v[112:113]
	s_delay_alu instid0(VALU_DEP_2) | instskip(NEXT) | instid1(VALU_DEP_2)
	v_fma_f64 v[114:115], v[108:109], s[16:17], v[110:111]
	v_fma_f64 v[120:121], v[18:19], s[14:15], v[112:113]
	s_delay_alu instid0(VALU_DEP_2) | instskip(NEXT) | instid1(VALU_DEP_1)
	v_fma_f64 v[114:115], v[104:105], s[2:3], v[114:115]
	v_fma_f64 v[122:123], v[22:23], s[14:15], v[114:115]
	s_and_saveexec_b32 s16, vcc_lo
	s_cbranch_execz .LBB0_5
; %bb.4:
	v_add_f64_e32 v[14:15], v[102:103], v[14:15]
	v_add_f64_e32 v[12:13], v[100:101], v[12:13]
	v_mul_f64_e32 v[100:101], s[12:13], v[28:29]
	v_mul_f64_e32 v[102:103], s[12:13], v[30:31]
	v_mul_f64_e32 v[30:31], s[2:3], v[30:31]
	v_mul_f64_e32 v[114:115], s[12:13], v[104:105]
	v_mul_f64_e32 v[112:113], s[12:13], v[108:109]
	v_mul_f64_e32 v[108:109], s[2:3], v[108:109]
	v_mul_f64_e32 v[28:29], s[2:3], v[28:29]
	v_mul_f64_e32 v[104:105], s[2:3], v[104:105]
	v_mul_f64_e32 v[16:17], s[14:15], v[16:17]
	v_mul_f64_e32 v[20:21], s[14:15], v[20:21]
	v_mul_f64_e32 v[18:19], s[14:15], v[18:19]
	v_mul_f64_e32 v[22:23], s[14:15], v[22:23]
	v_add_f64_e32 v[8:9], v[14:15], v[8:9]
	v_add_f64_e32 v[2:3], v[12:13], v[2:3]
	;; [unrolled: 1-line block ×3, first 2 shown]
	v_add_f64_e64 v[14:15], v[106:107], -v[102:103]
	v_add_f64_e64 v[26:27], v[26:27], -v[114:115]
	v_add_f64_e32 v[110:111], v[112:113], v[110:111]
	v_add_f64_e32 v[10:11], v[8:9], v[10:11]
	;; [unrolled: 1-line block ×5, first 2 shown]
	v_add_f64_e64 v[26:27], v[26:27], -v[108:109]
	v_add_f64_e64 v[24:25], v[110:111], -v[104:105]
	v_add_f64_e32 v[12:13], v[10:11], v[6:7]
	v_add_f64_e32 v[10:11], v[4:5], v[0:1]
	s_clause 0x1
	scratch_load_b32 v4, off, off offset:220
	scratch_load_b32 v5, off, off offset:216
	v_add_f64_e32 v[6:7], v[16:17], v[30:31]
	v_add_f64_e32 v[8:9], v[20:21], v[26:27]
	;; [unrolled: 1-line block ×4, first 2 shown]
	s_wait_loadcnt 0x1
	v_mul_u32_u24_e32 v4, 0x41, v4
	s_wait_loadcnt 0x0
	s_delay_alu instid0(VALU_DEP_1)
	v_add_nc_u32_e32 v4, v4, v5
	scratch_load_b32 v5, off, off           ; 4-byte Folded Reload
	s_wait_loadcnt 0x0
	v_lshl_add_u32 v4, v4, 4, v5
	ds_store_b128 v4, v[10:13]
	ds_store_b128 v4, v[6:9] offset:208
	ds_store_b128 v4, v[0:3] offset:416
	;; [unrolled: 1-line block ×4, first 2 shown]
.LBB0_5:
	s_wait_alu 0xfffe
	s_or_b32 exec_lo, exec_lo, s16
	v_mad_co_u64_u32 v[0:1], null, 0xc0, v39, s[10:11]
	scratch_store_b32 off, v39, off offset:52 ; 4-byte Folded Spill
	global_wb scope:SCOPE_SE
	s_wait_storecnt_dscnt 0x0
	s_barrier_signal -1
	s_barrier_wait -1
	global_inv scope:SCOPE_SE
	s_mov_b32 s30, 0x4267c47c
	s_clause 0x3
	global_load_b128 v[112:115], v[0:1], off offset:832
	global_load_b128 v[104:107], v[0:1], off offset:848
	;; [unrolled: 1-line block ×4, first 2 shown]
	ds_load_b128 v[124:127], v255 offset:1040
	ds_load_b128 v[6:9], v255
	ds_load_b128 v[2:5], v255 offset:2080
	ds_load_b128 v[10:13], v255 offset:3120
	s_mov_b32 s18, 0x42a4c3d2
	s_mov_b32 s20, 0x66966769
	;; [unrolled: 1-line block ×24, first 2 shown]
	s_wait_alu 0xfffe
	s_mov_b32 s38, s10
	s_mov_b32 s35, 0x3fefc445
	;; [unrolled: 1-line block ×11, first 2 shown]
	s_add_nc_u64 s[8:9], s[8:9], 0x34d0
	s_wait_loadcnt_dscnt 0x303
	v_mul_f64_e32 v[14:15], v[126:127], v[114:115]
	s_wait_loadcnt_dscnt 0x201
	v_mul_f64_e32 v[18:19], v[4:5], v[106:107]
	v_mul_f64_e32 v[20:21], v[2:3], v[106:107]
	;; [unrolled: 1-line block ×3, first 2 shown]
	s_delay_alu instid0(VALU_DEP_4) | instskip(NEXT) | instid1(VALU_DEP_4)
	v_fma_f64 v[14:15], v[124:125], v[112:113], -v[14:15]
	v_fma_f64 v[166:167], v[2:3], v[104:105], -v[18:19]
	s_delay_alu instid0(VALU_DEP_4) | instskip(SKIP_4) | instid1(VALU_DEP_3)
	v_fma_f64 v[168:169], v[4:5], v[104:105], v[20:21]
	s_wait_loadcnt_dscnt 0x100
	v_mul_f64_e32 v[2:3], v[12:13], v[102:103]
	v_mul_f64_e32 v[4:5], v[10:11], v[102:103]
	v_fma_f64 v[16:17], v[126:127], v[112:113], v[16:17]
	v_fma_f64 v[170:171], v[10:11], v[100:101], -v[2:3]
	s_delay_alu instid0(VALU_DEP_3)
	v_fma_f64 v[172:173], v[12:13], v[100:101], v[4:5]
	ds_load_b128 v[2:5], v255 offset:4160
	ds_load_b128 v[10:13], v255 offset:5200
	s_clause 0x1
	global_load_b128 v[128:131], v[0:1], off offset:896
	global_load_b128 v[124:127], v[0:1], off offset:912
	s_wait_loadcnt_dscnt 0x201
	v_mul_f64_e32 v[18:19], v[4:5], v[110:111]
	s_delay_alu instid0(VALU_DEP_1) | instskip(SKIP_1) | instid1(VALU_DEP_1)
	v_fma_f64 v[174:175], v[2:3], v[108:109], -v[18:19]
	v_mul_f64_e32 v[2:3], v[2:3], v[110:111]
	v_fma_f64 v[176:177], v[4:5], v[108:109], v[2:3]
	s_wait_loadcnt_dscnt 0x100
	v_mul_f64_e32 v[2:3], v[12:13], v[130:131]
	s_delay_alu instid0(VALU_DEP_1) | instskip(SKIP_1) | instid1(VALU_DEP_1)
	v_fma_f64 v[178:179], v[10:11], v[128:129], -v[2:3]
	v_mul_f64_e32 v[2:3], v[10:11], v[130:131]
	v_fma_f64 v[180:181], v[12:13], v[128:129], v[2:3]
	ds_load_b128 v[2:5], v255 offset:6240
	ds_load_b128 v[10:13], v255 offset:7280
	s_clause 0x1
	global_load_b128 v[136:139], v[0:1], off offset:928
	global_load_b128 v[132:135], v[0:1], off offset:944
	s_wait_loadcnt_dscnt 0x201
	v_mul_f64_e32 v[18:19], v[4:5], v[126:127]
	s_delay_alu instid0(VALU_DEP_1) | instskip(SKIP_1) | instid1(VALU_DEP_1)
	v_fma_f64 v[182:183], v[2:3], v[124:125], -v[18:19]
	v_mul_f64_e32 v[2:3], v[2:3], v[126:127]
	v_fma_f64 v[184:185], v[4:5], v[124:125], v[2:3]
	s_wait_loadcnt_dscnt 0x100
	v_mul_f64_e32 v[2:3], v[12:13], v[138:139]
	s_delay_alu instid0(VALU_DEP_1) | instskip(SKIP_1) | instid1(VALU_DEP_2)
	v_fma_f64 v[186:187], v[10:11], v[136:137], -v[2:3]
	v_mul_f64_e32 v[2:3], v[10:11], v[138:139]
	v_add_f64_e32 v[42:43], v[182:183], v[186:187]
	s_delay_alu instid0(VALU_DEP_2)
	v_fma_f64 v[188:189], v[12:13], v[136:137], v[2:3]
	ds_load_b128 v[2:5], v255 offset:8320
	ds_load_b128 v[10:13], v255 offset:9360
	s_clause 0x1
	global_load_b128 v[140:143], v[0:1], off offset:960
	global_load_b128 v[144:147], v[0:1], off offset:976
	s_wait_loadcnt_dscnt 0x201
	v_mul_f64_e32 v[18:19], v[4:5], v[134:135]
	v_add_f64_e64 v[40:41], v[184:185], -v[188:189]
	s_delay_alu instid0(VALU_DEP_2) | instskip(SKIP_1) | instid1(VALU_DEP_3)
	v_fma_f64 v[190:191], v[2:3], v[132:133], -v[18:19]
	v_mul_f64_e32 v[2:3], v[2:3], v[134:135]
	v_mul_f64_e32 v[44:45], s[2:3], v[40:41]
	s_delay_alu instid0(VALU_DEP_2) | instskip(NEXT) | instid1(VALU_DEP_2)
	v_fma_f64 v[192:193], v[4:5], v[132:133], v[2:3]
	v_fma_f64 v[46:47], v[42:43], s[12:13], -v[44:45]
	s_wait_loadcnt_dscnt 0x100
	v_mul_f64_e32 v[2:3], v[12:13], v[142:143]
	s_delay_alu instid0(VALU_DEP_1) | instskip(SKIP_1) | instid1(VALU_DEP_1)
	v_fma_f64 v[194:195], v[10:11], v[140:141], -v[2:3]
	v_mul_f64_e32 v[2:3], v[10:11], v[142:143]
	v_fma_f64 v[196:197], v[12:13], v[140:141], v[2:3]
	ds_load_b128 v[2:5], v255 offset:10400
	ds_load_b128 v[10:13], v255 offset:11440
	s_clause 0x1
	global_load_b128 v[148:151], v[0:1], off offset:992
	global_load_b128 v[152:155], v[0:1], off offset:1008
	s_wait_loadcnt_dscnt 0x201
	v_mul_f64_e32 v[18:19], v[4:5], v[146:147]
	s_delay_alu instid0(VALU_DEP_1) | instskip(SKIP_1) | instid1(VALU_DEP_2)
	v_fma_f64 v[198:199], v[2:3], v[144:145], -v[18:19]
	v_mul_f64_e32 v[2:3], v[2:3], v[146:147]
	v_add_f64_e64 v[253:254], v[170:171], -v[198:199]
	s_delay_alu instid0(VALU_DEP_2) | instskip(NEXT) | instid1(VALU_DEP_1)
	v_fma_f64 v[200:201], v[4:5], v[144:145], v[2:3]
	v_add_f64_e64 v[251:252], v[172:173], -v[200:201]
	s_wait_loadcnt_dscnt 0x100
	v_mul_f64_e32 v[0:1], v[12:13], v[150:151]
	s_delay_alu instid0(VALU_DEP_1) | instskip(SKIP_1) | instid1(VALU_DEP_1)
	v_fma_f64 v[202:203], v[10:11], v[148:149], -v[0:1]
	v_mul_f64_e32 v[0:1], v[10:11], v[150:151]
	v_fma_f64 v[204:205], v[12:13], v[148:149], v[0:1]
	ds_load_b128 v[0:3], v255 offset:12480
	s_wait_loadcnt_dscnt 0x0
	v_mul_f64_e32 v[4:5], v[0:1], v[154:155]
	s_delay_alu instid0(VALU_DEP_1) | instskip(SKIP_1) | instid1(VALU_DEP_2)
	v_fma_f64 v[206:207], v[2:3], v[152:153], v[4:5]
	v_mul_f64_e32 v[2:3], v[2:3], v[154:155]
	v_add_f64_e32 v[215:216], v[16:17], v[206:207]
	s_delay_alu instid0(VALU_DEP_2) | instskip(SKIP_1) | instid1(VALU_DEP_2)
	v_fma_f64 v[209:210], v[0:1], v[152:153], -v[2:3]
	v_add_f64_e64 v[0:1], v[16:17], -v[206:207]
	v_add_f64_e32 v[20:21], v[14:15], v[209:210]
	s_delay_alu instid0(VALU_DEP_2)
	v_mul_f64_e32 v[2:3], s[30:31], v[0:1]
	v_mul_f64_e32 v[4:5], s[18:19], v[0:1]
	;; [unrolled: 1-line block ×6, first 2 shown]
	v_fma_f64 v[22:23], v[20:21], s[28:29], -v[2:3]
	v_fma_f64 v[2:3], v[20:21], s[28:29], v[2:3]
	v_fma_f64 v[24:25], v[20:21], s[24:25], -v[4:5]
	v_fma_f64 v[4:5], v[20:21], s[24:25], v[4:5]
	;; [unrolled: 2-line block ×6, first 2 shown]
	v_add_f64_e64 v[0:1], v[14:15], -v[209:210]
	v_add_f64_e32 v[4:5], v[6:7], v[4:5]
	v_add_f64_e32 v[231:232], v[6:7], v[26:27]
	;; [unrolled: 1-line block ×5, first 2 shown]
	v_mul_f64_e32 v[213:214], s[10:11], v[0:1]
	v_mul_f64_e32 v[10:11], s[30:31], v[0:1]
	;; [unrolled: 1-line block ×6, first 2 shown]
	scratch_store_b64 off, v[18:19], off offset:280 ; 8-byte Folded Spill
	v_fma_f64 v[239:240], v[215:216], s[16:17], -v[213:214]
	v_fma_f64 v[219:220], v[215:216], s[28:29], v[10:11]
	v_fma_f64 v[10:11], v[215:216], s[28:29], -v[10:11]
	v_fma_f64 v[221:222], v[215:216], s[24:25], v[12:13]
	;; [unrolled: 2-line block ×5, first 2 shown]
	v_fma_f64 v[241:242], v[215:216], s[12:13], v[0:1]
	v_fma_f64 v[215:216], v[215:216], s[12:13], -v[0:1]
	v_add_f64_e32 v[0:1], v[6:7], v[14:15]
	v_add_f64_e32 v[160:161], v[6:7], v[2:3]
	;; [unrolled: 1-line block ×5, first 2 shown]
	v_add_f64_e64 v[28:29], v[180:181], -v[192:193]
	v_add_f64_e32 v[18:19], v[8:9], v[239:240]
	v_add_f64_e32 v[14:15], v[8:9], v[10:11]
	;; [unrolled: 1-line block ×5, first 2 shown]
	v_add_f64_e64 v[227:228], v[168:169], -v[204:205]
	v_add_f64_e32 v[247:248], v[8:9], v[235:236]
	v_add_f64_e32 v[221:222], v[168:169], v[204:205]
	v_add_f64_e32 v[235:236], v[170:171], v[198:199]
	v_add_f64_e32 v[243:244], v[8:9], v[211:212]
	v_add_f64_e32 v[26:27], v[8:9], v[237:238]
	v_add_f64_e32 v[237:238], v[172:173], v[200:201]
	v_add_f64_e32 v[211:212], v[174:175], v[194:195]
	v_mul_f64_e32 v[32:33], s[10:11], v[28:29]
	scratch_store_b64 off, v[18:19], off offset:272 ; 8-byte Folded Spill
	v_add_f64_e32 v[18:19], v[6:7], v[162:163]
	v_mul_f64_e32 v[162:163], s[18:19], v[227:228]
	scratch_store_b64 off, v[18:19], off offset:264 ; 8-byte Folded Spill
	v_add_f64_e32 v[18:19], v[8:9], v[241:242]
	scratch_store_b64 off, v[0:1], off offset:224 ; 8-byte Folded Spill
	v_add_f64_e32 v[0:1], v[8:9], v[16:17]
	v_add_f64_e32 v[16:17], v[6:7], v[22:23]
	;; [unrolled: 1-line block ×5, first 2 shown]
	scratch_store_b64 off, v[18:19], off offset:256 ; 8-byte Folded Spill
	v_mul_f64_e32 v[18:19], s[20:21], v[251:252]
	scratch_store_b64 off, v[0:1], off offset:232 ; 8-byte Folded Spill
	v_add_f64_e32 v[0:1], v[8:9], v[229:230]
	scratch_store_b64 off, v[6:7], off offset:240 ; 8-byte Folded Spill
	v_add_f64_e32 v[6:7], v[8:9], v[215:216]
	v_add_f64_e64 v[229:230], v[166:167], -v[202:203]
	v_add_f64_e32 v[215:216], v[176:177], v[196:197]
	v_fma_f64 v[20:21], v[235:236], s[26:27], -v[18:19]
	scratch_store_b64 off, v[6:7], off offset:248 ; 8-byte Folded Spill
	v_fma_f64 v[6:7], v[219:220], s[24:25], -v[162:163]
	s_delay_alu instid0(VALU_DEP_1) | instskip(SKIP_1) | instid1(VALU_DEP_1)
	v_add_f64_e32 v[6:7], v[6:7], v[16:17]
	v_mul_f64_e32 v[16:17], s[18:19], v[229:230]
	v_fma_f64 v[8:9], v[221:222], s[24:25], v[16:17]
	v_fma_f64 v[16:17], v[221:222], s[24:25], -v[16:17]
	s_delay_alu instid0(VALU_DEP_2) | instskip(SKIP_2) | instid1(VALU_DEP_4)
	v_add_f64_e32 v[8:9], v[8:9], v[22:23]
	v_add_f64_e32 v[22:23], v[20:21], v[6:7]
	v_mul_f64_e32 v[20:21], s[20:21], v[253:254]
	v_add_f64_e32 v[14:15], v[16:17], v[14:15]
	v_fma_f64 v[16:17], v[235:236], s[26:27], v[18:19]
	s_delay_alu instid0(VALU_DEP_3) | instskip(SKIP_1) | instid1(VALU_DEP_2)
	v_fma_f64 v[6:7], v[237:238], s[26:27], v[20:21]
	v_fma_f64 v[18:19], v[237:238], s[26:27], -v[20:21]
	v_add_f64_e32 v[24:25], v[6:7], v[8:9]
	v_add_f64_e64 v[6:7], v[176:177], -v[196:197]
	s_delay_alu instid0(VALU_DEP_3) | instskip(NEXT) | instid1(VALU_DEP_2)
	v_add_f64_e32 v[14:15], v[18:19], v[14:15]
	v_mul_f64_e32 v[239:240], s[14:15], v[6:7]
	s_delay_alu instid0(VALU_DEP_1) | instskip(SKIP_1) | instid1(VALU_DEP_2)
	v_fma_f64 v[8:9], v[211:212], s[22:23], -v[239:240]
	v_fma_f64 v[18:19], v[211:212], s[22:23], v[239:240]
	v_add_f64_e32 v[30:31], v[8:9], v[22:23]
	v_add_f64_e64 v[8:9], v[174:175], -v[194:195]
	s_delay_alu instid0(VALU_DEP_1) | instskip(NEXT) | instid1(VALU_DEP_1)
	v_mul_f64_e32 v[241:242], s[14:15], v[8:9]
	v_fma_f64 v[22:23], v[215:216], s[22:23], v[241:242]
	s_delay_alu instid0(VALU_DEP_1) | instskip(SKIP_1) | instid1(VALU_DEP_1)
	v_add_f64_e32 v[156:157], v[22:23], v[24:25]
	v_add_f64_e32 v[22:23], v[178:179], v[190:191]
	v_fma_f64 v[24:25], v[22:23], s[16:17], -v[32:33]
	s_delay_alu instid0(VALU_DEP_1) | instskip(SKIP_2) | instid1(VALU_DEP_2)
	v_add_f64_e32 v[34:35], v[24:25], v[30:31]
	v_add_f64_e64 v[30:31], v[178:179], -v[190:191]
	v_add_f64_e32 v[24:25], v[180:181], v[192:193]
	v_mul_f64_e32 v[36:37], s[10:11], v[30:31]
	s_delay_alu instid0(VALU_DEP_1) | instskip(NEXT) | instid1(VALU_DEP_1)
	v_fma_f64 v[38:39], v[24:25], s[16:17], v[36:37]
	v_add_f64_e32 v[38:39], v[38:39], v[156:157]
	v_add_f64_e32 v[156:157], v[46:47], v[34:35]
	v_add_f64_e64 v[34:35], v[182:183], -v[186:187]
	v_add_f64_e32 v[46:47], v[184:185], v[188:189]
	s_delay_alu instid0(VALU_DEP_2) | instskip(SKIP_2) | instid1(VALU_DEP_2)
	v_mul_f64_e32 v[48:49], s[2:3], v[34:35]
	s_wait_alu 0xfffe
	v_mul_f64_e32 v[239:240], s[36:37], v[34:35]
	v_fma_f64 v[50:51], v[46:47], s[12:13], v[48:49]
	v_fma_f64 v[20:21], v[46:47], s[12:13], -v[48:49]
	s_delay_alu instid0(VALU_DEP_2) | instskip(SKIP_2) | instid1(VALU_DEP_2)
	v_add_f64_e32 v[158:159], v[50:51], v[38:39]
	v_fma_f64 v[38:39], v[219:220], s[24:25], v[162:163]
	v_mul_f64_e32 v[50:51], s[36:37], v[40:41]
	v_add_f64_e32 v[38:39], v[38:39], v[160:161]
	s_delay_alu instid0(VALU_DEP_1) | instskip(NEXT) | instid1(VALU_DEP_1)
	v_add_f64_e32 v[16:17], v[16:17], v[38:39]
	v_add_f64_e32 v[16:17], v[18:19], v[16:17]
	v_fma_f64 v[18:19], v[215:216], s[22:23], -v[241:242]
	s_delay_alu instid0(VALU_DEP_1) | instskip(SKIP_1) | instid1(VALU_DEP_1)
	v_add_f64_e32 v[14:15], v[18:19], v[14:15]
	v_fma_f64 v[18:19], v[22:23], s[16:17], v[32:33]
	v_add_f64_e32 v[16:17], v[18:19], v[16:17]
	v_fma_f64 v[18:19], v[24:25], s[16:17], -v[36:37]
	s_delay_alu instid0(VALU_DEP_1) | instskip(SKIP_1) | instid1(VALU_DEP_2)
	v_add_f64_e32 v[14:15], v[18:19], v[14:15]
	v_fma_f64 v[18:19], v[42:43], s[12:13], v[44:45]
	v_add_f64_e32 v[162:163], v[20:21], v[14:15]
	v_mul_f64_e32 v[14:15], s[14:15], v[227:228]
	s_delay_alu instid0(VALU_DEP_3) | instskip(NEXT) | instid1(VALU_DEP_2)
	v_add_f64_e32 v[160:161], v[18:19], v[16:17]
	v_fma_f64 v[16:17], v[219:220], s[22:23], -v[14:15]
	v_fma_f64 v[14:15], v[219:220], s[22:23], v[14:15]
	s_delay_alu instid0(VALU_DEP_2) | instskip(SKIP_1) | instid1(VALU_DEP_3)
	v_add_f64_e32 v[12:13], v[16:17], v[12:13]
	v_mul_f64_e32 v[16:17], s[14:15], v[229:230]
	v_add_f64_e32 v[4:5], v[14:15], v[4:5]
	s_delay_alu instid0(VALU_DEP_2) | instskip(SKIP_1) | instid1(VALU_DEP_2)
	v_fma_f64 v[18:19], v[221:222], s[22:23], v[16:17]
	v_fma_f64 v[14:15], v[221:222], s[22:23], -v[16:17]
	v_add_f64_e32 v[10:11], v[18:19], v[10:11]
	v_mul_f64_e32 v[18:19], s[2:3], v[251:252]
	s_delay_alu instid0(VALU_DEP_3) | instskip(NEXT) | instid1(VALU_DEP_2)
	v_add_f64_e32 v[14:15], v[14:15], v[233:234]
	v_fma_f64 v[20:21], v[235:236], s[12:13], -v[18:19]
	v_fma_f64 v[16:17], v[235:236], s[12:13], v[18:19]
	v_fma_f64 v[18:19], v[46:47], s[28:29], -v[239:240]
	s_delay_alu instid0(VALU_DEP_3) | instskip(SKIP_1) | instid1(VALU_DEP_4)
	v_add_f64_e32 v[12:13], v[20:21], v[12:13]
	v_mul_f64_e32 v[20:21], s[2:3], v[253:254]
	v_add_f64_e32 v[4:5], v[16:17], v[4:5]
	s_delay_alu instid0(VALU_DEP_2) | instskip(SKIP_1) | instid1(VALU_DEP_2)
	v_fma_f64 v[32:33], v[237:238], s[12:13], v[20:21]
	v_fma_f64 v[16:17], v[237:238], s[12:13], -v[20:21]
	v_add_f64_e32 v[10:11], v[32:33], v[10:11]
	v_mul_f64_e32 v[32:33], s[38:39], v[6:7]
	s_delay_alu instid0(VALU_DEP_3) | instskip(NEXT) | instid1(VALU_DEP_2)
	v_add_f64_e32 v[14:15], v[16:17], v[14:15]
	v_fma_f64 v[36:37], v[211:212], s[16:17], -v[32:33]
	v_fma_f64 v[16:17], v[211:212], s[16:17], v[32:33]
	v_mul_f64_e32 v[32:33], s[2:3], v[229:230]
	s_delay_alu instid0(VALU_DEP_3) | instskip(SKIP_1) | instid1(VALU_DEP_4)
	v_add_f64_e32 v[12:13], v[36:37], v[12:13]
	v_mul_f64_e32 v[36:37], s[38:39], v[8:9]
	v_add_f64_e32 v[4:5], v[16:17], v[4:5]
	s_delay_alu instid0(VALU_DEP_4) | instskip(SKIP_1) | instid1(VALU_DEP_4)
	v_fma_f64 v[20:21], v[221:222], s[12:13], v[32:33]
	v_fma_f64 v[32:33], v[221:222], s[12:13], -v[32:33]
	v_fma_f64 v[38:39], v[215:216], s[16:17], v[36:37]
	v_fma_f64 v[16:17], v[215:216], s[16:17], -v[36:37]
	v_mul_f64_e32 v[36:37], s[40:41], v[251:252]
	v_add_f64_e32 v[20:21], v[20:21], v[223:224]
	v_add_f64_e32 v[0:1], v[32:33], v[0:1]
	;; [unrolled: 1-line block ×3, first 2 shown]
	v_mul_f64_e32 v[38:39], s[34:35], v[28:29]
	v_add_f64_e32 v[14:15], v[16:17], v[14:15]
	v_fma_f64 v[32:33], v[235:236], s[22:23], v[36:37]
	s_delay_alu instid0(VALU_DEP_3) | instskip(SKIP_2) | instid1(VALU_DEP_3)
	v_fma_f64 v[44:45], v[22:23], s[26:27], -v[38:39]
	v_fma_f64 v[16:17], v[22:23], s[26:27], v[38:39]
	v_fma_f64 v[38:39], v[235:236], s[22:23], -v[36:37]
	v_add_f64_e32 v[12:13], v[44:45], v[12:13]
	v_mul_f64_e32 v[44:45], s[34:35], v[30:31]
	s_delay_alu instid0(VALU_DEP_4) | instskip(NEXT) | instid1(VALU_DEP_2)
	v_add_f64_e32 v[4:5], v[16:17], v[4:5]
	v_fma_f64 v[16:17], v[24:25], s[26:27], -v[44:45]
	v_fma_f64 v[48:49], v[24:25], s[26:27], v[44:45]
	s_delay_alu instid0(VALU_DEP_2) | instskip(SKIP_1) | instid1(VALU_DEP_3)
	v_add_f64_e32 v[16:17], v[16:17], v[14:15]
	v_fma_f64 v[14:15], v[42:43], s[28:29], v[50:51]
	v_add_f64_e32 v[48:49], v[48:49], v[10:11]
	v_fma_f64 v[10:11], v[42:43], s[28:29], -v[50:51]
	s_delay_alu instid0(VALU_DEP_4) | instskip(NEXT) | instid1(VALU_DEP_4)
	v_add_f64_e32 v[16:17], v[18:19], v[16:17]
	v_add_f64_e32 v[14:15], v[14:15], v[4:5]
	v_mul_f64_e32 v[4:5], s[2:3], v[227:228]
	s_delay_alu instid0(VALU_DEP_4) | instskip(SKIP_1) | instid1(VALU_DEP_3)
	v_add_f64_e32 v[10:11], v[10:11], v[12:13]
	v_fma_f64 v[12:13], v[46:47], s[28:29], v[239:240]
	v_fma_f64 v[18:19], v[219:220], s[12:13], -v[4:5]
	v_fma_f64 v[4:5], v[219:220], s[12:13], v[4:5]
	s_delay_alu instid0(VALU_DEP_3) | instskip(NEXT) | instid1(VALU_DEP_3)
	v_add_f64_e32 v[12:13], v[12:13], v[48:49]
	v_add_f64_e32 v[18:19], v[18:19], v[231:232]
	s_delay_alu instid0(VALU_DEP_3) | instskip(NEXT) | instid1(VALU_DEP_2)
	v_add_f64_e32 v[4:5], v[4:5], v[213:214]
	v_add_f64_e32 v[18:19], v[38:39], v[18:19]
	v_mul_f64_e32 v[38:39], s[40:41], v[253:254]
	s_delay_alu instid0(VALU_DEP_3) | instskip(NEXT) | instid1(VALU_DEP_2)
	v_add_f64_e32 v[4:5], v[32:33], v[4:5]
	v_fma_f64 v[44:45], v[237:238], s[22:23], v[38:39]
	v_fma_f64 v[32:33], v[237:238], s[22:23], -v[38:39]
	v_mul_f64_e32 v[38:39], s[36:37], v[251:252]
	s_delay_alu instid0(VALU_DEP_3) | instskip(SKIP_1) | instid1(VALU_DEP_4)
	v_add_f64_e32 v[20:21], v[44:45], v[20:21]
	v_mul_f64_e32 v[44:45], s[36:37], v[6:7]
	v_add_f64_e32 v[0:1], v[32:33], v[0:1]
	s_delay_alu instid0(VALU_DEP_2) | instskip(SKIP_2) | instid1(VALU_DEP_3)
	v_fma_f64 v[48:49], v[211:212], s[28:29], -v[44:45]
	v_fma_f64 v[32:33], v[211:212], s[28:29], v[44:45]
	v_fma_f64 v[44:45], v[235:236], s[28:29], -v[38:39]
	v_add_f64_e32 v[18:19], v[48:49], v[18:19]
	v_mul_f64_e32 v[48:49], s[36:37], v[8:9]
	s_delay_alu instid0(VALU_DEP_4) | instskip(NEXT) | instid1(VALU_DEP_2)
	v_add_f64_e32 v[4:5], v[32:33], v[4:5]
	v_fma_f64 v[50:51], v[215:216], s[28:29], v[48:49]
	v_fma_f64 v[32:33], v[215:216], s[28:29], -v[48:49]
	s_delay_alu instid0(VALU_DEP_2) | instskip(SKIP_1) | instid1(VALU_DEP_3)
	v_add_f64_e32 v[20:21], v[50:51], v[20:21]
	v_mul_f64_e32 v[50:51], s[18:19], v[28:29]
	v_add_f64_e32 v[0:1], v[32:33], v[0:1]
	s_delay_alu instid0(VALU_DEP_2) | instskip(SKIP_1) | instid1(VALU_DEP_2)
	v_fma_f64 v[223:224], v[22:23], s[24:25], -v[50:51]
	v_fma_f64 v[32:33], v[22:23], s[24:25], v[50:51]
	v_add_f64_e32 v[18:19], v[223:224], v[18:19]
	v_mul_f64_e32 v[223:224], s[18:19], v[30:31]
	s_delay_alu instid0(VALU_DEP_3) | instskip(NEXT) | instid1(VALU_DEP_2)
	v_add_f64_e32 v[4:5], v[32:33], v[4:5]
	v_fma_f64 v[231:232], v[24:25], s[24:25], v[223:224]
	v_fma_f64 v[32:33], v[24:25], s[24:25], -v[223:224]
	s_delay_alu instid0(VALU_DEP_2) | instskip(SKIP_1) | instid1(VALU_DEP_3)
	v_add_f64_e32 v[20:21], v[231:232], v[20:21]
	v_mul_f64_e32 v[231:232], s[10:11], v[40:41]
	v_add_f64_e32 v[0:1], v[32:33], v[0:1]
	s_delay_alu instid0(VALU_DEP_2) | instskip(SKIP_1) | instid1(VALU_DEP_2)
	v_fma_f64 v[233:234], v[42:43], s[16:17], -v[231:232]
	v_fma_f64 v[32:33], v[42:43], s[16:17], v[231:232]
	v_add_f64_e32 v[18:19], v[233:234], v[18:19]
	v_mul_f64_e32 v[233:234], s[10:11], v[34:35]
	s_delay_alu instid0(VALU_DEP_3) | instskip(SKIP_1) | instid1(VALU_DEP_3)
	v_add_f64_e32 v[231:232], v[32:33], v[4:5]
	v_mul_f64_e32 v[32:33], s[38:39], v[229:230]
	v_fma_f64 v[36:37], v[46:47], s[16:17], -v[233:234]
	v_fma_f64 v[239:240], v[46:47], s[16:17], v[233:234]
	s_delay_alu instid0(VALU_DEP_2) | instskip(SKIP_2) | instid1(VALU_DEP_4)
	v_add_f64_e32 v[233:234], v[36:37], v[0:1]
	v_mul_f64_e32 v[0:1], s[38:39], v[227:228]
	v_fma_f64 v[36:37], v[221:222], s[16:17], v[32:33]
	v_add_f64_e32 v[20:21], v[239:240], v[20:21]
	v_fma_f64 v[32:33], v[221:222], s[16:17], -v[32:33]
	s_delay_alu instid0(VALU_DEP_4) | instskip(NEXT) | instid1(VALU_DEP_4)
	v_fma_f64 v[4:5], v[219:220], s[16:17], -v[0:1]
	v_add_f64_e32 v[36:37], v[36:37], v[247:248]
	v_mul_f64_e32 v[247:248], s[42:43], v[40:41]
	v_fma_f64 v[0:1], v[219:220], s[16:17], v[0:1]
	v_add_f64_e32 v[32:33], v[32:33], v[243:244]
	v_add_f64_e32 v[4:5], v[4:5], v[249:250]
	s_delay_alu instid0(VALU_DEP_3) | instskip(NEXT) | instid1(VALU_DEP_2)
	v_add_f64_e32 v[0:1], v[0:1], v[245:246]
	v_add_f64_e32 v[4:5], v[44:45], v[4:5]
	v_mul_f64_e32 v[44:45], s[36:37], v[253:254]
	s_delay_alu instid0(VALU_DEP_1) | instskip(NEXT) | instid1(VALU_DEP_1)
	v_fma_f64 v[48:49], v[237:238], s[28:29], v[44:45]
	v_add_f64_e32 v[36:37], v[48:49], v[36:37]
	v_mul_f64_e32 v[48:49], s[20:21], v[6:7]
	s_delay_alu instid0(VALU_DEP_1) | instskip(NEXT) | instid1(VALU_DEP_1)
	v_fma_f64 v[50:51], v[211:212], s[26:27], -v[48:49]
	v_add_f64_e32 v[4:5], v[50:51], v[4:5]
	v_mul_f64_e32 v[50:51], s[20:21], v[8:9]
	s_delay_alu instid0(VALU_DEP_1) | instskip(NEXT) | instid1(VALU_DEP_1)
	v_fma_f64 v[213:214], v[215:216], s[26:27], v[50:51]
	v_add_f64_e32 v[36:37], v[213:214], v[36:37]
	v_mul_f64_e32 v[213:214], s[44:45], v[28:29]
	s_delay_alu instid0(VALU_DEP_1) | instskip(NEXT) | instid1(VALU_DEP_1)
	v_fma_f64 v[223:224], v[22:23], s[12:13], -v[213:214]
	v_add_f64_e32 v[4:5], v[223:224], v[4:5]
	v_mul_f64_e32 v[223:224], s[44:45], v[30:31]
	s_delay_alu instid0(VALU_DEP_1) | instskip(NEXT) | instid1(VALU_DEP_1)
	v_fma_f64 v[239:240], v[24:25], s[12:13], v[223:224]
	v_add_f64_e32 v[36:37], v[239:240], v[36:37]
	v_fma_f64 v[239:240], v[42:43], s[24:25], -v[247:248]
	s_delay_alu instid0(VALU_DEP_1) | instskip(SKIP_1) | instid1(VALU_DEP_1)
	v_add_f64_e32 v[239:240], v[239:240], v[4:5]
	v_mul_f64_e32 v[4:5], s[42:43], v[34:35]
	v_fma_f64 v[241:242], v[46:47], s[24:25], v[4:5]
	v_fma_f64 v[4:5], v[46:47], s[24:25], -v[4:5]
	s_delay_alu instid0(VALU_DEP_2) | instskip(SKIP_1) | instid1(VALU_DEP_1)
	v_add_f64_e32 v[241:242], v[241:242], v[36:37]
	v_fma_f64 v[36:37], v[235:236], s[28:29], v[38:39]
	v_add_f64_e32 v[0:1], v[36:37], v[0:1]
	v_fma_f64 v[36:37], v[237:238], s[28:29], -v[44:45]
	s_delay_alu instid0(VALU_DEP_1) | instskip(SKIP_1) | instid1(VALU_DEP_1)
	v_add_f64_e32 v[32:33], v[36:37], v[32:33]
	v_fma_f64 v[36:37], v[211:212], s[26:27], v[48:49]
	v_add_f64_e32 v[0:1], v[36:37], v[0:1]
	v_fma_f64 v[36:37], v[215:216], s[26:27], -v[50:51]
	s_delay_alu instid0(VALU_DEP_1) | instskip(SKIP_1) | instid1(VALU_DEP_1)
	v_add_f64_e32 v[32:33], v[36:37], v[32:33]
	v_fma_f64 v[36:37], v[22:23], s[12:13], v[213:214]
	v_add_f64_e32 v[0:1], v[36:37], v[0:1]
	v_fma_f64 v[36:37], v[24:25], s[12:13], -v[223:224]
	s_delay_alu instid0(VALU_DEP_1) | instskip(SKIP_1) | instid1(VALU_DEP_2)
	v_add_f64_e32 v[32:33], v[36:37], v[32:33]
	v_fma_f64 v[36:37], v[42:43], s[24:25], v[247:248]
	v_add_f64_e32 v[245:246], v[4:5], v[32:33]
	v_mul_f64_e32 v[4:5], s[34:35], v[227:228]
	s_delay_alu instid0(VALU_DEP_3) | instskip(SKIP_1) | instid1(VALU_DEP_3)
	v_add_f64_e32 v[243:244], v[36:37], v[0:1]
	v_mul_f64_e32 v[32:33], s[34:35], v[229:230]
	v_fma_f64 v[0:1], v[219:220], s[26:27], -v[4:5]
	v_fma_f64 v[4:5], v[219:220], s[26:27], v[4:5]
	s_delay_alu instid0(VALU_DEP_2) | instskip(NEXT) | instid1(VALU_DEP_4)
	v_add_f64_e32 v[0:1], v[0:1], v[2:3]
	v_fma_f64 v[2:3], v[221:222], s[26:27], v[32:33]
	v_fma_f64 v[32:33], v[221:222], s[26:27], -v[32:33]
	s_delay_alu instid0(VALU_DEP_2) | instskip(SKIP_1) | instid1(VALU_DEP_1)
	v_add_f64_e32 v[2:3], v[2:3], v[26:27]
	v_mul_f64_e32 v[26:27], s[18:19], v[251:252]
	v_fma_f64 v[36:37], v[235:236], s[24:25], -v[26:27]
	v_fma_f64 v[26:27], v[235:236], s[24:25], v[26:27]
	s_delay_alu instid0(VALU_DEP_2) | instskip(SKIP_1) | instid1(VALU_DEP_1)
	v_add_f64_e32 v[0:1], v[36:37], v[0:1]
	v_mul_f64_e32 v[36:37], s[18:19], v[253:254]
	v_fma_f64 v[38:39], v[237:238], s[24:25], v[36:37]
	s_delay_alu instid0(VALU_DEP_1) | instskip(SKIP_1) | instid1(VALU_DEP_1)
	v_add_f64_e32 v[2:3], v[38:39], v[2:3]
	v_mul_f64_e32 v[38:39], s[44:45], v[6:7]
	v_fma_f64 v[44:45], v[211:212], s[12:13], -v[38:39]
	s_delay_alu instid0(VALU_DEP_1) | instskip(SKIP_2) | instid1(VALU_DEP_2)
	v_add_f64_e32 v[0:1], v[44:45], v[0:1]
	v_mul_f64_e32 v[44:45], s[44:45], v[8:9]
	v_mul_f64_e32 v[8:9], s[42:43], v[8:9]
	v_fma_f64 v[48:49], v[215:216], s[12:13], v[44:45]
	s_delay_alu instid0(VALU_DEP_1) | instskip(SKIP_2) | instid1(VALU_DEP_2)
	v_add_f64_e32 v[2:3], v[48:49], v[2:3]
	v_mul_f64_e32 v[48:49], s[36:37], v[28:29]
	v_mul_f64_e32 v[28:29], s[14:15], v[28:29]
	v_fma_f64 v[50:51], v[22:23], s[28:29], -v[48:49]
	s_delay_alu instid0(VALU_DEP_1) | instskip(SKIP_2) | instid1(VALU_DEP_2)
	v_add_f64_e32 v[0:1], v[50:51], v[0:1]
	v_mul_f64_e32 v[50:51], s[36:37], v[30:31]
	v_mul_f64_e32 v[30:31], s[14:15], v[30:31]
	v_fma_f64 v[213:214], v[24:25], s[28:29], v[50:51]
	s_delay_alu instid0(VALU_DEP_1) | instskip(SKIP_1) | instid1(VALU_DEP_1)
	v_add_f64_e32 v[2:3], v[213:214], v[2:3]
	v_mul_f64_e32 v[213:214], s[14:15], v[40:41]
	v_fma_f64 v[223:224], v[42:43], s[22:23], -v[213:214]
	s_delay_alu instid0(VALU_DEP_1) | instskip(SKIP_2) | instid1(VALU_DEP_2)
	v_add_f64_e32 v[0:1], v[223:224], v[0:1]
	v_mul_f64_e32 v[223:224], s[14:15], v[34:35]
	v_mul_f64_e32 v[34:35], s[34:35], v[34:35]
	v_fma_f64 v[247:248], v[46:47], s[22:23], v[223:224]
	s_delay_alu instid0(VALU_DEP_1)
	v_add_f64_e32 v[2:3], v[247:248], v[2:3]
	scratch_load_b64 v[247:248], off, off offset:280 th:TH_LOAD_LU ; 8-byte Folded Reload
	s_wait_loadcnt 0x0
	v_add_f64_e32 v[4:5], v[4:5], v[247:248]
	scratch_load_b64 v[247:248], off, off offset:272 th:TH_LOAD_LU ; 8-byte Folded Reload
	v_add_f64_e32 v[4:5], v[26:27], v[4:5]
	v_fma_f64 v[26:27], v[237:238], s[24:25], -v[36:37]
	v_fma_f64 v[36:37], v[46:47], s[22:23], -v[223:224]
	s_wait_loadcnt 0x0
	v_add_f64_e32 v[32:33], v[32:33], v[247:248]
	s_delay_alu instid0(VALU_DEP_1) | instskip(SKIP_4) | instid1(VALU_DEP_1)
	v_add_f64_e32 v[26:27], v[26:27], v[32:33]
	v_fma_f64 v[32:33], v[211:212], s[12:13], v[38:39]
	scratch_load_b64 v[38:39], off, off offset:256 th:TH_LOAD_LU ; 8-byte Folded Reload
	v_add_f64_e32 v[4:5], v[32:33], v[4:5]
	v_fma_f64 v[32:33], v[215:216], s[12:13], -v[44:45]
	v_add_f64_e32 v[26:27], v[32:33], v[26:27]
	v_fma_f64 v[32:33], v[22:23], s[28:29], v[48:49]
	s_delay_alu instid0(VALU_DEP_1) | instskip(SKIP_1) | instid1(VALU_DEP_1)
	v_add_f64_e32 v[4:5], v[32:33], v[4:5]
	v_fma_f64 v[32:33], v[24:25], s[28:29], -v[50:51]
	v_add_f64_e32 v[26:27], v[32:33], v[26:27]
	v_fma_f64 v[32:33], v[42:43], s[22:23], v[213:214]
	s_delay_alu instid0(VALU_DEP_2) | instskip(NEXT) | instid1(VALU_DEP_2)
	v_add_f64_e32 v[249:250], v[36:37], v[26:27]
	v_add_f64_e32 v[247:248], v[32:33], v[4:5]
	scratch_load_b64 v[32:33], off, off offset:264 th:TH_LOAD_LU ; 8-byte Folded Reload
	v_mul_f64_e32 v[26:27], s[36:37], v[227:228]
	s_delay_alu instid0(VALU_DEP_1) | instskip(SKIP_2) | instid1(VALU_DEP_2)
	v_fma_f64 v[4:5], v[219:220], s[28:29], -v[26:27]
	v_fma_f64 v[26:27], v[219:220], s[28:29], v[26:27]
	s_wait_loadcnt 0x0
	v_add_f64_e32 v[4:5], v[4:5], v[32:33]
	v_mul_f64_e32 v[32:33], s[36:37], v[229:230]
	s_delay_alu instid0(VALU_DEP_1) | instskip(SKIP_1) | instid1(VALU_DEP_2)
	v_fma_f64 v[36:37], v[221:222], s[28:29], v[32:33]
	v_fma_f64 v[32:33], v[221:222], s[28:29], -v[32:33]
	v_add_f64_e32 v[36:37], v[36:37], v[38:39]
	v_mul_f64_e32 v[38:39], s[10:11], v[251:252]
	s_delay_alu instid0(VALU_DEP_1) | instskip(SKIP_1) | instid1(VALU_DEP_2)
	v_fma_f64 v[44:45], v[235:236], s[16:17], -v[38:39]
	v_fma_f64 v[38:39], v[235:236], s[16:17], v[38:39]
	v_add_f64_e32 v[4:5], v[44:45], v[4:5]
	v_mul_f64_e32 v[44:45], s[10:11], v[253:254]
	s_delay_alu instid0(VALU_DEP_1) | instskip(NEXT) | instid1(VALU_DEP_1)
	v_fma_f64 v[48:49], v[237:238], s[16:17], v[44:45]
	v_add_f64_e32 v[36:37], v[48:49], v[36:37]
	v_mul_f64_e32 v[48:49], s[42:43], v[6:7]
	s_delay_alu instid0(VALU_DEP_1) | instskip(NEXT) | instid1(VALU_DEP_1)
	v_fma_f64 v[6:7], v[211:212], s[24:25], -v[48:49]
	v_add_f64_e32 v[4:5], v[6:7], v[4:5]
	v_fma_f64 v[6:7], v[215:216], s[24:25], v[8:9]
	v_fma_f64 v[8:9], v[215:216], s[24:25], -v[8:9]
	s_delay_alu instid0(VALU_DEP_2) | instskip(SKIP_2) | instid1(VALU_DEP_2)
	v_add_f64_e32 v[6:7], v[6:7], v[36:37]
	v_fma_f64 v[36:37], v[22:23], s[22:23], -v[28:29]
	v_fma_f64 v[22:23], v[22:23], s[22:23], v[28:29]
	v_add_f64_e32 v[4:5], v[36:37], v[4:5]
	v_fma_f64 v[36:37], v[24:25], s[22:23], v[30:31]
	v_fma_f64 v[24:25], v[24:25], s[22:23], -v[30:31]
	v_fma_f64 v[30:31], v[46:47], s[26:27], -v[34:35]
	s_delay_alu instid0(VALU_DEP_3) | instskip(SKIP_1) | instid1(VALU_DEP_1)
	v_add_f64_e32 v[6:7], v[36:37], v[6:7]
	v_mul_f64_e32 v[36:37], s[34:35], v[40:41]
	v_fma_f64 v[40:41], v[42:43], s[26:27], -v[36:37]
	v_fma_f64 v[28:29], v[42:43], s[26:27], v[36:37]
	s_delay_alu instid0(VALU_DEP_2) | instskip(SKIP_1) | instid1(VALU_DEP_1)
	v_add_f64_e32 v[4:5], v[40:41], v[4:5]
	v_fma_f64 v[40:41], v[46:47], s[26:27], v[34:35]
	v_add_f64_e32 v[6:7], v[40:41], v[6:7]
	v_fma_f64 v[40:41], v[237:238], s[16:17], -v[44:45]
	scratch_load_b64 v[44:45], off, off offset:240 th:TH_LOAD_LU ; 8-byte Folded Reload
	s_wait_loadcnt 0x0
	v_add_f64_e32 v[26:27], v[26:27], v[44:45]
	scratch_load_b64 v[44:45], off, off offset:248 th:TH_LOAD_LU ; 8-byte Folded Reload
	v_add_f64_e32 v[26:27], v[38:39], v[26:27]
	s_wait_loadcnt 0x0
	v_add_f64_e32 v[32:33], v[32:33], v[44:45]
	v_fma_f64 v[44:45], v[211:212], s[24:25], v[48:49]
	s_delay_alu instid0(VALU_DEP_2) | instskip(NEXT) | instid1(VALU_DEP_2)
	v_add_f64_e32 v[32:33], v[40:41], v[32:33]
	v_add_f64_e32 v[26:27], v[44:45], v[26:27]
	s_delay_alu instid0(VALU_DEP_2) | instskip(NEXT) | instid1(VALU_DEP_2)
	v_add_f64_e32 v[8:9], v[8:9], v[32:33]
	v_add_f64_e32 v[22:23], v[22:23], v[26:27]
	scratch_load_b64 v[26:27], off, off offset:232 th:TH_LOAD_LU ; 8-byte Folded Reload
	v_add_f64_e32 v[8:9], v[24:25], v[8:9]
	v_add_f64_e32 v[22:23], v[28:29], v[22:23]
	s_delay_alu instid0(VALU_DEP_2) | instskip(SKIP_3) | instid1(VALU_DEP_1)
	v_add_f64_e32 v[24:25], v[30:31], v[8:9]
	scratch_load_b64 v[8:9], off, off offset:224 th:TH_LOAD_LU ; 8-byte Folded Reload
	s_wait_loadcnt 0x1
	v_add_f64_e32 v[26:27], v[26:27], v[168:169]
	v_add_f64_e32 v[26:27], v[26:27], v[172:173]
	s_wait_loadcnt 0x0
	v_add_f64_e32 v[8:9], v[8:9], v[166:167]
	s_delay_alu instid0(VALU_DEP_2) | instskip(NEXT) | instid1(VALU_DEP_2)
	v_add_f64_e32 v[26:27], v[26:27], v[176:177]
	v_add_f64_e32 v[8:9], v[8:9], v[170:171]
	s_delay_alu instid0(VALU_DEP_2) | instskip(NEXT) | instid1(VALU_DEP_2)
	v_add_f64_e32 v[26:27], v[26:27], v[180:181]
	;; [unrolled: 3-line block ×9, first 2 shown]
	v_add_f64_e32 v[8:9], v[8:9], v[202:203]
	s_delay_alu instid0(VALU_DEP_1)
	v_add_f64_e32 v[26:27], v[8:9], v[209:210]
	ds_store_b128 v255, v[10:13] offset:2080
	ds_store_b128 v255, v[18:21] offset:3120
	;; [unrolled: 1-line block ×12, first 2 shown]
	ds_store_b128 v255, v[26:29]
	global_wb scope:SCOPE_SE
	s_wait_storecnt_dscnt 0x0
	s_barrier_signal -1
	s_barrier_wait -1
	global_inv scope:SCOPE_SE
	global_load_b128 v[0:3], v[164:165], off offset:13520
	ds_load_b128 v[4:7], v255
	ds_load_b128 v[8:11], v255 offset:1040
	s_wait_loadcnt_dscnt 0x1
	v_mul_f64_e32 v[12:13], v[6:7], v[2:3]
	v_mul_f64_e32 v[2:3], v[4:5], v[2:3]
	s_delay_alu instid0(VALU_DEP_2) | instskip(NEXT) | instid1(VALU_DEP_2)
	v_fma_f64 v[156:157], v[4:5], v[0:1], -v[12:13]
	v_fma_f64 v[158:159], v[6:7], v[0:1], v[2:3]
	s_clause 0x1
	global_load_b128 v[0:3], v225, s[8:9] offset:1040
	global_load_b128 v[4:7], v225, s[8:9] offset:2080
	s_wait_loadcnt_dscnt 0x100
	v_mul_f64_e32 v[12:13], v[10:11], v[2:3]
	v_mul_f64_e32 v[2:3], v[8:9], v[2:3]
	s_delay_alu instid0(VALU_DEP_2) | instskip(NEXT) | instid1(VALU_DEP_2)
	v_fma_f64 v[160:161], v[8:9], v[0:1], -v[12:13]
	v_fma_f64 v[162:163], v[10:11], v[0:1], v[2:3]
	ds_load_b128 v[0:3], v255 offset:2080
	ds_load_b128 v[8:11], v255 offset:3120
	s_wait_loadcnt_dscnt 0x1
	v_mul_f64_e32 v[12:13], v[2:3], v[6:7]
	v_mul_f64_e32 v[6:7], v[0:1], v[6:7]
	s_delay_alu instid0(VALU_DEP_2) | instskip(NEXT) | instid1(VALU_DEP_2)
	v_fma_f64 v[0:1], v[0:1], v[4:5], -v[12:13]
	v_fma_f64 v[2:3], v[2:3], v[4:5], v[6:7]
	s_clause 0x1
	global_load_b128 v[4:7], v225, s[8:9] offset:3120
	global_load_b128 v[12:15], v225, s[8:9] offset:4160
	s_wait_loadcnt_dscnt 0x100
	v_mul_f64_e32 v[16:17], v[10:11], v[6:7]
	v_mul_f64_e32 v[18:19], v[8:9], v[6:7]
	s_delay_alu instid0(VALU_DEP_2) | instskip(NEXT) | instid1(VALU_DEP_2)
	v_fma_f64 v[6:7], v[8:9], v[4:5], -v[16:17]
	v_fma_f64 v[8:9], v[10:11], v[4:5], v[18:19]
	ds_load_b128 v[16:19], v255 offset:4160
	;; [unrolled: 17-line block ×3, first 2 shown]
	ds_load_b128 v[28:31], v255 offset:7280
	s_wait_loadcnt_dscnt 0x1
	v_mul_f64_e32 v[4:5], v[22:23], v[26:27]
	v_mul_f64_e32 v[14:15], v[20:21], v[26:27]
	s_delay_alu instid0(VALU_DEP_2) | instskip(NEXT) | instid1(VALU_DEP_2)
	v_fma_f64 v[20:21], v[20:21], v[24:25], -v[4:5]
	v_fma_f64 v[22:23], v[22:23], v[24:25], v[14:15]
	s_clause 0x1
	global_load_b128 v[24:27], v225, s[8:9] offset:7280
	global_load_b128 v[164:167], v225, s[8:9] offset:8320
	ds_load_b128 v[168:171], v255 offset:8320
	ds_load_b128 v[172:175], v255 offset:9360
	s_clause 0x1
	global_load_b128 v[176:179], v225, s[8:9] offset:9360
	global_load_b128 v[180:183], v225, s[8:9] offset:10400
	s_wait_loadcnt_dscnt 0x302
	v_mul_f64_e32 v[4:5], v[30:31], v[26:27]
	v_mul_f64_e32 v[14:15], v[28:29], v[26:27]
	s_delay_alu instid0(VALU_DEP_2) | instskip(NEXT) | instid1(VALU_DEP_2)
	v_fma_f64 v[26:27], v[28:29], v[24:25], -v[4:5]
	v_fma_f64 v[28:29], v[30:31], v[24:25], v[14:15]
	s_wait_loadcnt_dscnt 0x201
	v_mul_f64_e32 v[4:5], v[170:171], v[166:167]
	v_mul_f64_e32 v[14:15], v[168:169], v[166:167]
	s_delay_alu instid0(VALU_DEP_2) | instskip(NEXT) | instid1(VALU_DEP_2)
	v_fma_f64 v[166:167], v[168:169], v[164:165], -v[4:5]
	v_fma_f64 v[168:169], v[170:171], v[164:165], v[14:15]
	;; [unrolled: 6-line block ×3, first 2 shown]
	ds_load_b128 v[174:177], v255 offset:10400
	ds_load_b128 v[184:187], v255 offset:11440
	s_wait_loadcnt_dscnt 0x1
	v_mul_f64_e32 v[4:5], v[176:177], v[182:183]
	v_mul_f64_e32 v[14:15], v[174:175], v[182:183]
	s_delay_alu instid0(VALU_DEP_2) | instskip(NEXT) | instid1(VALU_DEP_2)
	v_fma_f64 v[174:175], v[174:175], v[180:181], -v[4:5]
	v_fma_f64 v[176:177], v[176:177], v[180:181], v[14:15]
	s_clause 0x1
	global_load_b128 v[178:181], v225, s[8:9] offset:11440
	global_load_b128 v[188:191], v225, s[8:9] offset:12480
	s_wait_loadcnt_dscnt 0x100
	v_mul_f64_e32 v[4:5], v[186:187], v[180:181]
	v_mul_f64_e32 v[14:15], v[184:185], v[180:181]
	s_delay_alu instid0(VALU_DEP_2) | instskip(NEXT) | instid1(VALU_DEP_2)
	v_fma_f64 v[180:181], v[184:185], v[178:179], -v[4:5]
	v_fma_f64 v[182:183], v[186:187], v[178:179], v[14:15]
	ds_load_b128 v[184:187], v255 offset:12480
	s_wait_loadcnt_dscnt 0x0
	v_mul_f64_e32 v[4:5], v[186:187], v[190:191]
	v_mul_f64_e32 v[14:15], v[184:185], v[190:191]
	s_delay_alu instid0(VALU_DEP_2) | instskip(NEXT) | instid1(VALU_DEP_2)
	v_fma_f64 v[184:185], v[184:185], v[188:189], -v[4:5]
	v_fma_f64 v[186:187], v[186:187], v[188:189], v[14:15]
	ds_store_b128 v255, v[156:159]
	ds_store_b128 v255, v[160:163] offset:1040
	ds_store_b128 v255, v[0:3] offset:2080
	;; [unrolled: 1-line block ×12, first 2 shown]
	global_wb scope:SCOPE_SE
	s_wait_dscnt 0x0
	s_barrier_signal -1
	s_barrier_wait -1
	global_inv scope:SCOPE_SE
	ds_load_b128 v[156:159], v255
	ds_load_b128 v[160:163], v255 offset:1040
	ds_load_b128 v[164:167], v255 offset:2080
	ds_load_b128 v[168:171], v255 offset:3120
	ds_load_b128 v[172:175], v255 offset:4160
	ds_load_b128 v[176:179], v255 offset:5200
	ds_load_b128 v[180:183], v255 offset:6240
	ds_load_b128 v[184:187], v255 offset:7280
	ds_load_b128 v[8:11], v255 offset:8320
	ds_load_b128 v[12:15], v255 offset:9360
	s_wait_dscnt 0x8
	v_add_f64_e32 v[0:1], v[156:157], v[160:161]
	v_add_f64_e32 v[2:3], v[158:159], v[162:163]
	s_wait_dscnt 0x1
	v_add_f64_e32 v[20:21], v[178:179], v[10:11]
	v_add_f64_e64 v[22:23], v[178:179], -v[10:11]
	s_wait_dscnt 0x0
	v_add_f64_e32 v[196:197], v[174:175], v[14:15]
	v_add_f64_e64 v[202:203], v[174:175], -v[14:15]
	v_add_f64_e32 v[192:193], v[182:183], v[186:187]
	v_add_f64_e64 v[194:195], v[182:183], -v[186:187]
	v_add_f64_e32 v[0:1], v[0:1], v[164:165]
	v_add_f64_e32 v[2:3], v[2:3], v[166:167]
	v_mul_f64_e32 v[190:191], s[16:17], v[20:21]
	s_delay_alu instid0(VALU_DEP_3) | instskip(NEXT) | instid1(VALU_DEP_3)
	v_add_f64_e32 v[0:1], v[0:1], v[168:169]
	v_add_f64_e32 v[2:3], v[2:3], v[170:171]
	s_delay_alu instid0(VALU_DEP_2) | instskip(NEXT) | instid1(VALU_DEP_2)
	v_add_f64_e32 v[0:1], v[0:1], v[172:173]
	v_add_f64_e32 v[2:3], v[2:3], v[174:175]
	s_delay_alu instid0(VALU_DEP_2) | instskip(NEXT) | instid1(VALU_DEP_2)
	v_add_f64_e32 v[0:1], v[0:1], v[176:177]
	v_add_f64_e32 v[2:3], v[2:3], v[178:179]
	s_delay_alu instid0(VALU_DEP_2) | instskip(NEXT) | instid1(VALU_DEP_2)
	v_add_f64_e32 v[4:5], v[0:1], v[180:181]
	v_add_f64_e32 v[6:7], v[2:3], v[182:183]
	v_add_f64_e32 v[0:1], v[180:181], v[184:185]
	v_add_f64_e64 v[2:3], v[180:181], -v[184:185]
	s_delay_alu instid0(VALU_DEP_4) | instskip(NEXT) | instid1(VALU_DEP_4)
	v_add_f64_e32 v[16:17], v[4:5], v[184:185]
	v_add_f64_e32 v[18:19], v[6:7], v[186:187]
	v_add_f64_e32 v[4:5], v[176:177], v[8:9]
	v_add_f64_e64 v[6:7], v[176:177], -v[8:9]
	s_delay_alu instid0(VALU_DEP_4) | instskip(NEXT) | instid1(VALU_DEP_4)
	;; [unrolled: 5-line block ×3, first 2 shown]
	v_add_f64_e32 v[28:29], v[16:17], v[12:13]
	v_add_f64_e32 v[30:31], v[18:19], v[14:15]
	ds_load_b128 v[16:19], v255 offset:10400
	ds_load_b128 v[24:27], v255 offset:11440
	s_wait_dscnt 0x1
	v_add_f64_e32 v[12:13], v[168:169], v[16:17]
	v_add_f64_e32 v[204:205], v[170:171], v[18:19]
	v_add_f64_e64 v[14:15], v[168:169], -v[16:17]
	v_add_f64_e64 v[206:207], v[170:171], -v[18:19]
	s_wait_dscnt 0x0
	v_add_f64_e32 v[209:210], v[166:167], v[26:27]
	v_add_f64_e64 v[211:212], v[166:167], -v[26:27]
	v_add_f64_e32 v[28:29], v[28:29], v[16:17]
	v_add_f64_e32 v[30:31], v[30:31], v[18:19]
	;; [unrolled: 1-line block ×3, first 2 shown]
	v_add_f64_e64 v[18:19], v[164:165], -v[24:25]
	s_delay_alu instid0(VALU_DEP_4) | instskip(NEXT) | instid1(VALU_DEP_4)
	v_add_f64_e32 v[28:29], v[28:29], v[24:25]
	v_add_f64_e32 v[30:31], v[30:31], v[26:27]
	ds_load_b128 v[24:27], v255 offset:12480
	global_wb scope:SCOPE_SE
	s_wait_dscnt 0x0
	s_barrier_signal -1
	s_barrier_wait -1
	global_inv scope:SCOPE_SE
	v_add_f64_e64 v[32:33], v[162:163], -v[26:27]
	v_add_f64_e32 v[34:35], v[160:161], v[24:25]
	v_add_f64_e32 v[36:37], v[162:163], v[26:27]
	v_add_f64_e64 v[38:39], v[160:161], -v[24:25]
	v_add_f64_e32 v[164:165], v[28:29], v[24:25]
	v_add_f64_e32 v[166:167], v[30:31], v[26:27]
	v_mul_f64_e32 v[24:25], s[30:31], v[32:33]
	v_mul_f64_e32 v[26:27], s[18:19], v[32:33]
	;; [unrolled: 1-line block ×10, first 2 shown]
	v_fma_f64 v[42:43], v[34:35], s[28:29], v[24:25]
	v_fma_f64 v[24:25], v[34:35], s[28:29], -v[24:25]
	v_fma_f64 v[44:45], v[34:35], s[24:25], v[26:27]
	v_fma_f64 v[26:27], v[34:35], s[24:25], -v[26:27]
	;; [unrolled: 2-line block ×6, first 2 shown]
	v_mul_f64_e32 v[34:35], s[28:29], v[36:37]
	v_fma_f64 v[176:177], v[38:39], s[42:43], v[162:163]
	v_mul_f64_e32 v[36:37], s[12:13], v[36:37]
	v_fma_f64 v[178:179], v[38:39], s[34:35], v[168:169]
	v_fma_f64 v[180:181], v[38:39], s[20:21], v[168:169]
	;; [unrolled: 1-line block ×7, first 2 shown]
	v_add_f64_e32 v[168:169], v[156:157], v[24:25]
	v_add_f64_e32 v[219:220], v[156:157], v[26:27]
	;; [unrolled: 1-line block ×8, first 2 shown]
	v_mul_f64_e32 v[40:41], s[2:3], v[206:207]
	v_add_f64_e32 v[200:201], v[156:157], v[32:33]
	v_fma_f64 v[174:175], v[38:39], s[36:37], v[34:35]
	v_fma_f64 v[34:35], v[38:39], s[30:31], v[34:35]
	;; [unrolled: 1-line block ×4, first 2 shown]
	v_add_f64_e32 v[38:39], v[156:157], v[42:43]
	v_add_f64_e32 v[221:222], v[158:159], v[178:179]
	;; [unrolled: 1-line block ×3, first 2 shown]
	v_mul_f64_e32 v[178:179], s[24:25], v[209:210]
	v_mul_f64_e32 v[180:181], s[20:21], v[206:207]
	v_add_f64_e32 v[229:230], v[158:159], v[182:183]
	v_mul_f64_e32 v[182:183], s[26:27], v[204:205]
	v_add_f64_e32 v[233:234], v[158:159], v[184:185]
	;; [unrolled: 2-line block ×4, first 2 shown]
	v_add_f64_e32 v[26:27], v[156:157], v[160:161]
	v_add_f64_e32 v[162:163], v[158:159], v[162:163]
	;; [unrolled: 1-line block ×6, first 2 shown]
	v_mul_f64_e32 v[176:177], s[18:19], v[211:212]
	v_add_f64_e32 v[24:25], v[158:159], v[188:189]
	v_mul_f64_e32 v[188:189], s[10:11], v[22:23]
	v_fma_f64 v[30:31], v[18:19], s[42:43], v[178:179]
	v_fma_f64 v[32:33], v[12:13], s[26:27], v[180:181]
	v_add_f64_e32 v[198:199], v[158:159], v[36:37]
	v_fma_f64 v[28:29], v[16:17], s[24:25], v[176:177]
	s_delay_alu instid0(VALU_DEP_4) | instskip(SKIP_2) | instid1(VALU_DEP_4)
	v_add_f64_e32 v[30:31], v[30:31], v[42:43]
	v_fma_f64 v[42:43], v[12:13], s[12:13], v[40:41]
	v_fma_f64 v[40:41], v[12:13], s[12:13], -v[40:41]
	v_add_f64_e32 v[28:29], v[28:29], v[38:39]
	v_mul_f64_e32 v[38:39], s[14:15], v[211:212]
	s_delay_alu instid0(VALU_DEP_2) | instskip(SKIP_1) | instid1(VALU_DEP_1)
	v_add_f64_e32 v[28:29], v[32:33], v[28:29]
	v_fma_f64 v[32:33], v[14:15], s[34:35], v[182:183]
	v_add_f64_e32 v[30:31], v[32:33], v[30:31]
	v_fma_f64 v[32:33], v[8:9], s[22:23], v[184:185]
	s_delay_alu instid0(VALU_DEP_1) | instskip(SKIP_1) | instid1(VALU_DEP_1)
	v_add_f64_e32 v[28:29], v[32:33], v[28:29]
	v_fma_f64 v[32:33], v[10:11], s[40:41], v[186:187]
	v_add_f64_e32 v[30:31], v[32:33], v[30:31]
	v_fma_f64 v[32:33], v[4:5], s[16:17], v[188:189]
	s_delay_alu instid0(VALU_DEP_1) | instskip(SKIP_1) | instid1(VALU_DEP_1)
	v_add_f64_e32 v[28:29], v[32:33], v[28:29]
	v_fma_f64 v[32:33], v[6:7], s[38:39], v[190:191]
	v_add_f64_e32 v[30:31], v[32:33], v[30:31]
	v_mul_f64_e32 v[32:33], s[2:3], v[194:195]
	s_delay_alu instid0(VALU_DEP_1) | instskip(NEXT) | instid1(VALU_DEP_1)
	v_fma_f64 v[36:37], v[0:1], s[12:13], v[32:33]
	v_add_f64_e32 v[172:173], v[36:37], v[28:29]
	v_mul_f64_e32 v[36:37], s[12:13], v[192:193]
	s_delay_alu instid0(VALU_DEP_1) | instskip(NEXT) | instid1(VALU_DEP_1)
	v_fma_f64 v[28:29], v[2:3], s[44:45], v[36:37]
	v_add_f64_e32 v[174:175], v[28:29], v[30:31]
	v_fma_f64 v[28:29], v[16:17], s[22:23], v[38:39]
	v_fma_f64 v[38:39], v[16:17], s[22:23], -v[38:39]
	s_delay_alu instid0(VALU_DEP_2) | instskip(SKIP_1) | instid1(VALU_DEP_3)
	v_add_f64_e32 v[28:29], v[28:29], v[34:35]
	v_mul_f64_e32 v[34:35], s[22:23], v[209:210]
	v_add_f64_e32 v[38:39], v[38:39], v[219:220]
	s_delay_alu instid0(VALU_DEP_3) | instskip(NEXT) | instid1(VALU_DEP_3)
	v_add_f64_e32 v[28:29], v[42:43], v[28:29]
	v_fma_f64 v[30:31], v[18:19], s[40:41], v[34:35]
	v_mul_f64_e32 v[42:43], s[12:13], v[204:205]
	v_fma_f64 v[34:35], v[18:19], s[14:15], v[34:35]
	v_add_f64_e32 v[38:39], v[40:41], v[38:39]
	s_delay_alu instid0(VALU_DEP_4) | instskip(NEXT) | instid1(VALU_DEP_4)
	v_add_f64_e32 v[30:31], v[30:31], v[44:45]
	v_fma_f64 v[44:45], v[14:15], s[44:45], v[42:43]
	s_delay_alu instid0(VALU_DEP_4) | instskip(SKIP_1) | instid1(VALU_DEP_3)
	v_add_f64_e32 v[34:35], v[34:35], v[162:163]
	v_fma_f64 v[40:41], v[14:15], s[2:3], v[42:43]
	v_add_f64_e32 v[30:31], v[44:45], v[30:31]
	v_mul_f64_e32 v[44:45], s[38:39], v[202:203]
	s_delay_alu instid0(VALU_DEP_3) | instskip(NEXT) | instid1(VALU_DEP_2)
	v_add_f64_e32 v[34:35], v[40:41], v[34:35]
	v_fma_f64 v[156:157], v[8:9], s[16:17], v[44:45]
	v_fma_f64 v[40:41], v[8:9], s[16:17], -v[44:45]
	v_mul_f64_e32 v[44:45], s[40:41], v[206:207]
	s_delay_alu instid0(VALU_DEP_3) | instskip(SKIP_1) | instid1(VALU_DEP_4)
	v_add_f64_e32 v[28:29], v[156:157], v[28:29]
	v_mul_f64_e32 v[156:157], s[16:17], v[196:197]
	v_add_f64_e32 v[38:39], v[40:41], v[38:39]
	s_delay_alu instid0(VALU_DEP_2) | instskip(SKIP_1) | instid1(VALU_DEP_2)
	v_fma_f64 v[158:159], v[10:11], s[10:11], v[156:157]
	v_fma_f64 v[40:41], v[10:11], s[38:39], v[156:157]
	v_add_f64_e32 v[30:31], v[158:159], v[30:31]
	v_mul_f64_e32 v[158:159], s[34:35], v[22:23]
	s_delay_alu instid0(VALU_DEP_3) | instskip(NEXT) | instid1(VALU_DEP_2)
	v_add_f64_e32 v[34:35], v[40:41], v[34:35]
	v_fma_f64 v[160:161], v[4:5], s[26:27], v[158:159]
	v_fma_f64 v[40:41], v[4:5], s[26:27], -v[158:159]
	s_delay_alu instid0(VALU_DEP_2) | instskip(SKIP_1) | instid1(VALU_DEP_3)
	v_add_f64_e32 v[28:29], v[160:161], v[28:29]
	v_mul_f64_e32 v[160:161], s[26:27], v[20:21]
	v_add_f64_e32 v[38:39], v[40:41], v[38:39]
	s_delay_alu instid0(VALU_DEP_2) | instskip(SKIP_1) | instid1(VALU_DEP_2)
	v_fma_f64 v[237:238], v[6:7], s[20:21], v[160:161]
	v_fma_f64 v[40:41], v[6:7], s[34:35], v[160:161]
	v_add_f64_e32 v[30:31], v[237:238], v[30:31]
	v_mul_f64_e32 v[237:238], s[36:37], v[194:195]
	s_delay_alu instid0(VALU_DEP_3) | instskip(NEXT) | instid1(VALU_DEP_2)
	v_add_f64_e32 v[34:35], v[40:41], v[34:35]
	v_fma_f64 v[239:240], v[0:1], s[28:29], v[237:238]
	v_fma_f64 v[40:41], v[0:1], s[28:29], -v[237:238]
	v_mul_f64_e32 v[237:238], s[18:19], v[22:23]
	s_delay_alu instid0(VALU_DEP_3) | instskip(SKIP_1) | instid1(VALU_DEP_4)
	v_add_f64_e32 v[28:29], v[239:240], v[28:29]
	v_mul_f64_e32 v[239:240], s[28:29], v[192:193]
	v_add_f64_e32 v[160:161], v[40:41], v[38:39]
	v_mul_f64_e32 v[40:41], s[12:13], v[209:210]
	s_delay_alu instid0(VALU_DEP_3) | instskip(SKIP_2) | instid1(VALU_DEP_3)
	v_fma_f64 v[42:43], v[2:3], s[36:37], v[239:240]
	v_fma_f64 v[241:242], v[2:3], s[30:31], v[239:240]
	v_mul_f64_e32 v[239:240], s[24:25], v[20:21]
	v_add_f64_e32 v[162:163], v[42:43], v[34:35]
	v_mul_f64_e32 v[34:35], s[2:3], v[211:212]
	v_fma_f64 v[42:43], v[18:19], s[44:45], v[40:41]
	v_add_f64_e32 v[30:31], v[241:242], v[30:31]
	v_mul_f64_e32 v[241:242], s[10:11], v[194:195]
	v_fma_f64 v[40:41], v[18:19], s[2:3], v[40:41]
	v_fma_f64 v[38:39], v[16:17], s[12:13], v[34:35]
	v_add_f64_e32 v[42:43], v[42:43], v[221:222]
	v_fma_f64 v[34:35], v[16:17], s[12:13], -v[34:35]
	s_delay_alu instid0(VALU_DEP_4) | instskip(NEXT) | instid1(VALU_DEP_4)
	v_add_f64_e32 v[40:41], v[40:41], v[227:228]
	v_add_f64_e32 v[38:39], v[38:39], v[46:47]
	v_fma_f64 v[46:47], v[12:13], s[22:23], v[44:45]
	s_delay_alu instid0(VALU_DEP_4) | instskip(NEXT) | instid1(VALU_DEP_2)
	v_add_f64_e32 v[34:35], v[34:35], v[223:224]
	v_add_f64_e32 v[38:39], v[46:47], v[38:39]
	v_mul_f64_e32 v[46:47], s[22:23], v[204:205]
	s_delay_alu instid0(VALU_DEP_1) | instskip(NEXT) | instid1(VALU_DEP_1)
	v_fma_f64 v[156:157], v[14:15], s[14:15], v[46:47]
	v_add_f64_e32 v[42:43], v[156:157], v[42:43]
	v_mul_f64_e32 v[156:157], s[36:37], v[202:203]
	s_delay_alu instid0(VALU_DEP_1) | instskip(NEXT) | instid1(VALU_DEP_1)
	v_fma_f64 v[158:159], v[8:9], s[28:29], v[156:157]
	;; [unrolled: 4-line block ×3, first 2 shown]
	v_add_f64_e32 v[42:43], v[219:220], v[42:43]
	v_fma_f64 v[219:220], v[4:5], s[24:25], v[237:238]
	s_delay_alu instid0(VALU_DEP_1) | instskip(SKIP_1) | instid1(VALU_DEP_1)
	v_add_f64_e32 v[38:39], v[219:220], v[38:39]
	v_fma_f64 v[219:220], v[6:7], s[42:43], v[239:240]
	v_add_f64_e32 v[42:43], v[219:220], v[42:43]
	v_fma_f64 v[219:220], v[0:1], s[16:17], v[241:242]
	s_delay_alu instid0(VALU_DEP_1) | instskip(SKIP_1) | instid1(VALU_DEP_1)
	v_add_f64_e32 v[219:220], v[219:220], v[38:39]
	v_mul_f64_e32 v[38:39], s[16:17], v[192:193]
	v_fma_f64 v[221:222], v[2:3], s[38:39], v[38:39]
	v_fma_f64 v[38:39], v[2:3], s[10:11], v[38:39]
	s_delay_alu instid0(VALU_DEP_2) | instskip(SKIP_2) | instid1(VALU_DEP_2)
	v_add_f64_e32 v[221:222], v[221:222], v[42:43]
	v_fma_f64 v[42:43], v[12:13], s[22:23], -v[44:45]
	v_mul_f64_e32 v[44:45], s[36:37], v[206:207]
	v_add_f64_e32 v[34:35], v[42:43], v[34:35]
	v_fma_f64 v[42:43], v[14:15], s[40:41], v[46:47]
	s_delay_alu instid0(VALU_DEP_3) | instskip(NEXT) | instid1(VALU_DEP_2)
	v_fma_f64 v[46:47], v[12:13], s[28:29], v[44:45]
	v_add_f64_e32 v[40:41], v[42:43], v[40:41]
	v_fma_f64 v[42:43], v[8:9], s[28:29], -v[156:157]
	s_delay_alu instid0(VALU_DEP_1) | instskip(SKIP_1) | instid1(VALU_DEP_1)
	v_add_f64_e32 v[34:35], v[42:43], v[34:35]
	v_fma_f64 v[42:43], v[10:11], s[36:37], v[158:159]
	v_add_f64_e32 v[40:41], v[42:43], v[40:41]
	v_fma_f64 v[42:43], v[4:5], s[24:25], -v[237:238]
	v_mul_f64_e32 v[237:238], s[44:45], v[22:23]
	s_delay_alu instid0(VALU_DEP_2) | instskip(SKIP_2) | instid1(VALU_DEP_2)
	v_add_f64_e32 v[34:35], v[42:43], v[34:35]
	v_fma_f64 v[42:43], v[6:7], s[18:19], v[239:240]
	v_mul_f64_e32 v[239:240], s[12:13], v[20:21]
	v_add_f64_e32 v[40:41], v[42:43], v[40:41]
	v_fma_f64 v[42:43], v[0:1], s[16:17], -v[241:242]
	v_mul_f64_e32 v[241:242], s[42:43], v[194:195]
	s_delay_alu instid0(VALU_DEP_3) | instskip(NEXT) | instid1(VALU_DEP_3)
	v_add_f64_e32 v[158:159], v[38:39], v[40:41]
	v_add_f64_e32 v[156:157], v[42:43], v[34:35]
	v_mul_f64_e32 v[34:35], s[38:39], v[211:212]
	v_mul_f64_e32 v[40:41], s[16:17], v[209:210]
	s_delay_alu instid0(VALU_DEP_2) | instskip(NEXT) | instid1(VALU_DEP_2)
	v_fma_f64 v[38:39], v[16:17], s[16:17], v[34:35]
	v_fma_f64 v[42:43], v[18:19], s[10:11], v[40:41]
	v_fma_f64 v[34:35], v[16:17], s[16:17], -v[34:35]
	v_fma_f64 v[40:41], v[18:19], s[38:39], v[40:41]
	s_delay_alu instid0(VALU_DEP_4) | instskip(NEXT) | instid1(VALU_DEP_4)
	v_add_f64_e32 v[38:39], v[38:39], v[48:49]
	v_add_f64_e32 v[42:43], v[42:43], v[229:230]
	s_delay_alu instid0(VALU_DEP_4) | instskip(NEXT) | instid1(VALU_DEP_4)
	v_add_f64_e32 v[34:35], v[34:35], v[231:232]
	v_add_f64_e32 v[40:41], v[40:41], v[233:234]
	s_delay_alu instid0(VALU_DEP_4) | instskip(SKIP_1) | instid1(VALU_DEP_1)
	v_add_f64_e32 v[38:39], v[46:47], v[38:39]
	v_mul_f64_e32 v[46:47], s[28:29], v[204:205]
	v_fma_f64 v[48:49], v[14:15], s[30:31], v[46:47]
	s_delay_alu instid0(VALU_DEP_1) | instskip(SKIP_1) | instid1(VALU_DEP_1)
	v_add_f64_e32 v[42:43], v[48:49], v[42:43]
	v_mul_f64_e32 v[48:49], s[20:21], v[202:203]
	v_fma_f64 v[223:224], v[8:9], s[26:27], v[48:49]
	s_delay_alu instid0(VALU_DEP_1) | instskip(SKIP_1) | instid1(VALU_DEP_1)
	v_add_f64_e32 v[38:39], v[223:224], v[38:39]
	v_mul_f64_e32 v[223:224], s[26:27], v[196:197]
	v_fma_f64 v[227:228], v[10:11], s[34:35], v[223:224]
	s_delay_alu instid0(VALU_DEP_1) | instskip(SKIP_1) | instid1(VALU_DEP_1)
	v_add_f64_e32 v[42:43], v[227:228], v[42:43]
	v_fma_f64 v[227:228], v[4:5], s[12:13], v[237:238]
	v_add_f64_e32 v[38:39], v[227:228], v[38:39]
	v_fma_f64 v[227:228], v[6:7], s[2:3], v[239:240]
	s_delay_alu instid0(VALU_DEP_1) | instskip(SKIP_1) | instid1(VALU_DEP_1)
	v_add_f64_e32 v[42:43], v[227:228], v[42:43]
	v_fma_f64 v[227:228], v[0:1], s[24:25], v[241:242]
	v_add_f64_e32 v[227:228], v[227:228], v[38:39]
	v_mul_f64_e32 v[38:39], s[24:25], v[192:193]
	s_delay_alu instid0(VALU_DEP_1) | instskip(SKIP_1) | instid1(VALU_DEP_2)
	v_fma_f64 v[229:230], v[2:3], s[18:19], v[38:39]
	v_fma_f64 v[38:39], v[2:3], s[42:43], v[38:39]
	v_add_f64_e32 v[229:230], v[229:230], v[42:43]
	v_fma_f64 v[42:43], v[12:13], s[28:29], -v[44:45]
	v_mul_f64_e32 v[44:45], s[18:19], v[206:207]
	s_delay_alu instid0(VALU_DEP_2) | instskip(SKIP_1) | instid1(VALU_DEP_3)
	v_add_f64_e32 v[34:35], v[42:43], v[34:35]
	v_fma_f64 v[42:43], v[14:15], s[36:37], v[46:47]
	v_fma_f64 v[46:47], v[12:13], s[24:25], v[44:45]
	s_delay_alu instid0(VALU_DEP_2) | instskip(SKIP_1) | instid1(VALU_DEP_1)
	v_add_f64_e32 v[40:41], v[42:43], v[40:41]
	v_fma_f64 v[42:43], v[8:9], s[26:27], -v[48:49]
	v_add_f64_e32 v[34:35], v[42:43], v[34:35]
	v_fma_f64 v[42:43], v[10:11], s[20:21], v[223:224]
	s_delay_alu instid0(VALU_DEP_1) | instskip(SKIP_1) | instid1(VALU_DEP_1)
	v_add_f64_e32 v[40:41], v[42:43], v[40:41]
	v_fma_f64 v[42:43], v[4:5], s[12:13], -v[237:238]
	v_add_f64_e32 v[34:35], v[42:43], v[34:35]
	v_fma_f64 v[42:43], v[6:7], s[44:45], v[239:240]
	v_mul_f64_e32 v[239:240], s[28:29], v[20:21]
	s_delay_alu instid0(VALU_DEP_2) | instskip(SKIP_2) | instid1(VALU_DEP_3)
	v_add_f64_e32 v[40:41], v[42:43], v[40:41]
	v_fma_f64 v[42:43], v[0:1], s[24:25], -v[241:242]
	v_mul_f64_e32 v[241:242], s[14:15], v[194:195]
	v_add_f64_e32 v[233:234], v[38:39], v[40:41]
	s_delay_alu instid0(VALU_DEP_3) | instskip(SKIP_2) | instid1(VALU_DEP_2)
	v_add_f64_e32 v[231:232], v[42:43], v[34:35]
	v_mul_f64_e32 v[34:35], s[34:35], v[211:212]
	v_mul_f64_e32 v[40:41], s[26:27], v[209:210]
	v_fma_f64 v[38:39], v[16:17], s[26:27], v[34:35]
	s_delay_alu instid0(VALU_DEP_2) | instskip(SKIP_2) | instid1(VALU_DEP_4)
	v_fma_f64 v[42:43], v[18:19], s[20:21], v[40:41]
	v_fma_f64 v[34:35], v[16:17], s[26:27], -v[34:35]
	v_fma_f64 v[40:41], v[18:19], s[34:35], v[40:41]
	v_add_f64_e32 v[38:39], v[38:39], v[50:51]
	s_delay_alu instid0(VALU_DEP_4) | instskip(NEXT) | instid1(VALU_DEP_4)
	v_add_f64_e32 v[42:43], v[42:43], v[235:236]
	v_add_f64_e32 v[34:35], v[34:35], v[215:216]
	s_delay_alu instid0(VALU_DEP_4) | instskip(NEXT) | instid1(VALU_DEP_4)
	v_add_f64_e32 v[40:41], v[40:41], v[213:214]
	v_add_f64_e32 v[38:39], v[46:47], v[38:39]
	v_mul_f64_e32 v[46:47], s[24:25], v[204:205]
	s_delay_alu instid0(VALU_DEP_1) | instskip(NEXT) | instid1(VALU_DEP_1)
	v_fma_f64 v[48:49], v[14:15], s[42:43], v[46:47]
	v_add_f64_e32 v[42:43], v[48:49], v[42:43]
	v_mul_f64_e32 v[48:49], s[44:45], v[202:203]
	s_delay_alu instid0(VALU_DEP_1) | instskip(NEXT) | instid1(VALU_DEP_1)
	v_fma_f64 v[50:51], v[8:9], s[12:13], v[48:49]
	;; [unrolled: 4-line block ×4, first 2 shown]
	v_add_f64_e32 v[38:39], v[235:236], v[38:39]
	v_fma_f64 v[235:236], v[6:7], s[30:31], v[239:240]
	s_delay_alu instid0(VALU_DEP_1) | instskip(SKIP_1) | instid1(VALU_DEP_1)
	v_add_f64_e32 v[42:43], v[235:236], v[42:43]
	v_fma_f64 v[235:236], v[0:1], s[22:23], v[241:242]
	v_add_f64_e32 v[235:236], v[235:236], v[38:39]
	v_mul_f64_e32 v[38:39], s[22:23], v[192:193]
	v_mul_f64_e32 v[192:193], s[26:27], v[192:193]
	s_delay_alu instid0(VALU_DEP_2) | instskip(SKIP_1) | instid1(VALU_DEP_2)
	v_fma_f64 v[237:238], v[2:3], s[40:41], v[38:39]
	v_fma_f64 v[38:39], v[2:3], s[14:15], v[38:39]
	v_add_f64_e32 v[237:238], v[237:238], v[42:43]
	v_fma_f64 v[42:43], v[12:13], s[24:25], -v[44:45]
	s_delay_alu instid0(VALU_DEP_1) | instskip(SKIP_1) | instid1(VALU_DEP_1)
	v_add_f64_e32 v[34:35], v[42:43], v[34:35]
	v_fma_f64 v[42:43], v[14:15], s[18:19], v[46:47]
	v_add_f64_e32 v[40:41], v[42:43], v[40:41]
	v_fma_f64 v[42:43], v[8:9], s[12:13], -v[48:49]
	s_delay_alu instid0(VALU_DEP_1) | instskip(SKIP_2) | instid1(VALU_DEP_2)
	v_add_f64_e32 v[34:35], v[42:43], v[34:35]
	v_fma_f64 v[42:43], v[10:11], s[44:45], v[50:51]
	v_mul_f64_e32 v[50:51], s[34:35], v[194:195]
	v_add_f64_e32 v[40:41], v[42:43], v[40:41]
	v_fma_f64 v[42:43], v[4:5], s[28:29], -v[223:224]
	s_delay_alu instid0(VALU_DEP_1) | instskip(SKIP_1) | instid1(VALU_DEP_1)
	v_add_f64_e32 v[34:35], v[42:43], v[34:35]
	v_fma_f64 v[42:43], v[6:7], s[36:37], v[239:240]
	v_add_f64_e32 v[40:41], v[42:43], v[40:41]
	v_fma_f64 v[42:43], v[0:1], s[22:23], -v[241:242]
	s_delay_alu instid0(VALU_DEP_2) | instskip(NEXT) | instid1(VALU_DEP_2)
	v_add_f64_e32 v[215:216], v[38:39], v[40:41]
	v_add_f64_e32 v[213:214], v[42:43], v[34:35]
	v_mul_f64_e32 v[34:35], s[36:37], v[211:212]
	s_delay_alu instid0(VALU_DEP_1) | instskip(NEXT) | instid1(VALU_DEP_1)
	v_fma_f64 v[38:39], v[16:17], s[28:29], v[34:35]
	v_add_f64_e32 v[26:27], v[38:39], v[26:27]
	v_mul_f64_e32 v[38:39], s[28:29], v[209:210]
	s_delay_alu instid0(VALU_DEP_1) | instskip(NEXT) | instid1(VALU_DEP_1)
	v_fma_f64 v[40:41], v[18:19], s[30:31], v[38:39]
	;; [unrolled: 4-line block ×7, first 2 shown]
	v_add_f64_e32 v[22:23], v[22:23], v[26:27]
	v_mul_f64_e32 v[26:27], s[22:23], v[20:21]
	s_delay_alu instid0(VALU_DEP_1) | instskip(SKIP_2) | instid1(VALU_DEP_3)
	v_fma_f64 v[20:21], v[6:7], s[40:41], v[26:27]
	v_fma_f64 v[26:27], v[6:7], s[14:15], v[26:27]
	;; [unrolled: 1-line block ×3, first 2 shown]
	v_add_f64_e32 v[24:25], v[20:21], v[24:25]
	v_fma_f64 v[20:21], v[0:1], s[26:27], v[50:51]
	s_delay_alu instid0(VALU_DEP_1) | instskip(SKIP_1) | instid1(VALU_DEP_1)
	v_add_f64_e32 v[20:21], v[20:21], v[22:23]
	v_fma_f64 v[22:23], v[2:3], s[20:21], v[192:193]
	v_add_f64_e32 v[22:23], v[22:23], v[24:25]
	v_fma_f64 v[24:25], v[16:17], s[28:29], -v[34:35]
	v_fma_f64 v[34:35], v[18:19], s[36:37], v[38:39]
	v_fma_f64 v[38:39], v[12:13], s[16:17], -v[40:41]
	v_fma_f64 v[16:17], v[16:17], s[24:25], -v[176:177]
	v_fma_f64 v[18:19], v[18:19], s[18:19], v[178:179]
	v_fma_f64 v[12:13], v[12:13], s[26:27], -v[180:181]
	v_add_f64_e32 v[24:25], v[24:25], v[200:201]
	v_add_f64_e32 v[34:35], v[34:35], v[198:199]
	;; [unrolled: 1-line block ×4, first 2 shown]
	s_delay_alu instid0(VALU_DEP_4) | instskip(SKIP_3) | instid1(VALU_DEP_3)
	v_add_f64_e32 v[24:25], v[38:39], v[24:25]
	v_fma_f64 v[38:39], v[14:15], s[10:11], v[42:43]
	v_fma_f64 v[14:15], v[14:15], s[20:21], v[182:183]
	v_add_f64_e32 v[12:13], v[12:13], v[16:17]
	v_add_f64_e32 v[34:35], v[38:39], v[34:35]
	v_fma_f64 v[38:39], v[8:9], s[24:25], -v[44:45]
	v_fma_f64 v[8:9], v[8:9], s[22:23], -v[184:185]
	v_add_f64_e32 v[14:15], v[14:15], v[18:19]
	s_delay_alu instid0(VALU_DEP_3) | instskip(SKIP_3) | instid1(VALU_DEP_3)
	v_add_f64_e32 v[24:25], v[38:39], v[24:25]
	v_fma_f64 v[38:39], v[10:11], s[42:43], v[46:47]
	v_fma_f64 v[10:11], v[10:11], s[14:15], v[186:187]
	v_add_f64_e32 v[8:9], v[8:9], v[12:13]
	v_add_f64_e32 v[34:35], v[38:39], v[34:35]
	v_fma_f64 v[38:39], v[4:5], s[22:23], -v[48:49]
	v_fma_f64 v[4:5], v[4:5], s[16:17], -v[188:189]
	v_add_f64_e32 v[10:11], v[10:11], v[14:15]
	s_delay_alu instid0(VALU_DEP_4) | instskip(NEXT) | instid1(VALU_DEP_4)
	v_add_f64_e32 v[26:27], v[26:27], v[34:35]
	v_add_f64_e32 v[24:25], v[38:39], v[24:25]
	v_fma_f64 v[34:35], v[0:1], s[26:27], -v[50:51]
	v_fma_f64 v[38:39], v[2:3], s[34:35], v[192:193]
	v_fma_f64 v[0:1], v[0:1], s[12:13], -v[32:33]
	v_fma_f64 v[2:3], v[2:3], s[2:3], v[36:37]
	v_add_f64_e32 v[4:5], v[4:5], v[8:9]
	v_add_f64_e32 v[6:7], v[6:7], v[10:11]
	;; [unrolled: 1-line block ×4, first 2 shown]
	s_delay_alu instid0(VALU_DEP_4) | instskip(NEXT) | instid1(VALU_DEP_4)
	v_add_f64_e32 v[168:169], v[0:1], v[4:5]
	v_add_f64_e32 v[170:171], v[2:3], v[6:7]
	ds_store_b128 v226, v[28:31] offset:32
	ds_store_b128 v226, v[219:222] offset:48
	;; [unrolled: 1-line block ×9, first 2 shown]
	ds_store_b128 v226, v[164:167]
	ds_store_b128 v226, v[156:159] offset:160
	ds_store_b128 v226, v[160:163] offset:176
	ds_store_b128 v226, v[168:171] offset:192
	global_wb scope:SCOPE_SE
	s_wait_dscnt 0x0
	s_barrier_signal -1
	s_barrier_wait -1
	global_inv scope:SCOPE_SE
	ds_load_b128 v[164:167], v255
	ds_load_b128 v[172:175], v255 offset:1040
	ds_load_b128 v[192:195], v255 offset:2704
	;; [unrolled: 1-line block ×9, first 2 shown]
	s_and_saveexec_b32 s2, vcc_lo
	s_cbranch_execz .LBB0_7
; %bb.6:
	ds_load_b128 v[156:159], v255 offset:2080
	ds_load_b128 v[160:163], v255 offset:4784
	;; [unrolled: 1-line block ×5, first 2 shown]
.LBB0_7:
	s_wait_alu 0xfffe
	s_or_b32 exec_lo, exec_lo, s2
	s_wait_dscnt 0x5
	v_mul_f64_e32 v[2:3], v[74:75], v[198:199]
	s_wait_dscnt 0x3
	v_mul_f64_e32 v[4:5], v[78:79], v[202:203]
	v_mul_f64_e32 v[10:11], v[74:75], v[196:197]
	v_mul_f64_e32 v[12:13], v[78:79], v[200:201]
	v_mul_f64_e32 v[0:1], v[70:71], v[194:195]
	v_mul_f64_e32 v[6:7], v[70:71], v[192:193]
	s_wait_dscnt 0x1
	v_mul_f64_e32 v[8:9], v[82:83], v[206:207]
	v_mul_f64_e32 v[14:15], v[82:83], v[204:205]
	v_mul_f64_e32 v[16:17], v[86:87], v[178:179]
	v_mul_f64_e32 v[18:19], v[90:91], v[182:183]
	;; [unrolled: 6-line block ×3, first 2 shown]
	v_mul_f64_e32 v[30:31], v[98:99], v[188:189]
	s_mov_b32 s2, 0x134454ff
	s_mov_b32 s3, 0xbfee6f0e
	s_mov_b32 s9, 0x3fee6f0e
	s_wait_alu 0xfffe
	s_mov_b32 s8, s2
	s_mov_b32 s12, 0x4755a5e
	;; [unrolled: 1-line block ×4, first 2 shown]
	s_wait_alu 0xfffe
	s_mov_b32 s10, s12
	s_mov_b32 s14, 0x372fe950
	;; [unrolled: 1-line block ×3, first 2 shown]
	global_wb scope:SCOPE_SE
	s_barrier_signal -1
	s_barrier_wait -1
	global_inv scope:SCOPE_SE
	v_fma_f64 v[2:3], v[72:73], v[196:197], v[2:3]
	v_fma_f64 v[4:5], v[76:77], v[200:201], v[4:5]
	v_fma_f64 v[10:11], v[72:73], v[198:199], -v[10:11]
	v_fma_f64 v[12:13], v[76:77], v[202:203], -v[12:13]
	v_fma_f64 v[0:1], v[68:69], v[192:193], v[0:1]
	v_fma_f64 v[6:7], v[68:69], v[194:195], -v[6:7]
	v_fma_f64 v[8:9], v[80:81], v[204:205], v[8:9]
	;; [unrolled: 2-line block ×3, first 2 shown]
	v_fma_f64 v[18:19], v[88:89], v[180:181], v[18:19]
	v_fma_f64 v[20:21], v[92:93], v[184:185], v[20:21]
	;; [unrolled: 1-line block ×3, first 2 shown]
	v_fma_f64 v[26:27], v[88:89], v[182:183], -v[26:27]
	v_fma_f64 v[28:29], v[92:93], v[186:187], -v[28:29]
	;; [unrolled: 1-line block ×4, first 2 shown]
	v_add_f64_e32 v[32:33], v[2:3], v[4:5]
	v_add_f64_e64 v[78:79], v[2:3], -v[4:5]
	v_add_f64_e32 v[36:37], v[10:11], v[12:13]
	v_add_f64_e32 v[48:49], v[164:165], v[0:1]
	;; [unrolled: 1-line block ×5, first 2 shown]
	v_add_f64_e64 v[50:51], v[6:7], -v[14:15]
	v_add_f64_e32 v[72:73], v[172:173], v[16:17]
	v_add_f64_e32 v[40:41], v[18:19], v[20:21]
	;; [unrolled: 1-line block ×3, first 2 shown]
	v_add_f64_e64 v[76:77], v[0:1], -v[8:9]
	v_add_f64_e32 v[44:45], v[26:27], v[28:29]
	v_add_f64_e64 v[68:69], v[10:11], -v[12:13]
	v_add_f64_e32 v[46:47], v[22:23], v[30:31]
	v_add_f64_e32 v[74:75], v[174:175], v[22:23]
	v_add_f64_e64 v[80:81], v[22:23], -v[30:31]
	v_add_f64_e64 v[82:83], v[26:27], -v[28:29]
	;; [unrolled: 1-line block ×14, first 2 shown]
	v_fma_f64 v[32:33], v[32:33], -0.5, v[164:165]
	v_fma_f64 v[36:37], v[36:37], -0.5, v[166:167]
	v_add_f64_e32 v[2:3], v[48:49], v[2:3]
	v_add_f64_e32 v[10:11], v[70:71], v[10:11]
	v_fma_f64 v[34:35], v[34:35], -0.5, v[164:165]
	v_fma_f64 v[38:39], v[38:39], -0.5, v[166:167]
	v_add_f64_e64 v[164:165], v[16:17], -v[18:19]
	v_add_f64_e64 v[166:167], v[24:25], -v[20:21]
	v_fma_f64 v[40:41], v[40:41], -0.5, v[172:173]
	v_fma_f64 v[42:43], v[42:43], -0.5, v[172:173]
	v_add_f64_e64 v[16:17], v[18:19], -v[16:17]
	v_fma_f64 v[44:45], v[44:45], -0.5, v[174:175]
	v_add_f64_e32 v[18:19], v[72:73], v[18:19]
	v_fma_f64 v[46:47], v[46:47], -0.5, v[174:175]
	v_add_f64_e64 v[174:175], v[22:23], -v[26:27]
	v_add_f64_e64 v[22:23], v[26:27], -v[22:23]
	;; [unrolled: 1-line block ×3, first 2 shown]
	v_add_f64_e32 v[26:27], v[74:75], v[26:27]
	v_add_f64_e32 v[88:89], v[88:89], v[90:91]
	;; [unrolled: 1-line block ×5, first 2 shown]
	v_fma_f64 v[48:49], v[50:51], s[2:3], v[32:33]
	v_fma_f64 v[32:33], v[50:51], s[8:9], v[32:33]
	;; [unrolled: 1-line block ×4, first 2 shown]
	v_add_f64_e32 v[0:1], v[2:3], v[4:5]
	v_fma_f64 v[70:71], v[68:69], s[8:9], v[34:35]
	v_fma_f64 v[34:35], v[68:69], s[2:3], v[34:35]
	;; [unrolled: 1-line block ×12, first 2 shown]
	v_add_f64_e32 v[2:3], v[10:11], v[12:13]
	v_add_f64_e32 v[96:97], v[164:165], v[166:167]
	;; [unrolled: 1-line block ×7, first 2 shown]
	v_fma_f64 v[10:11], v[68:69], s[12:13], v[48:49]
	s_wait_alu 0xfffe
	v_fma_f64 v[12:13], v[68:69], s[10:11], v[32:33]
	v_fma_f64 v[22:23], v[78:79], s[10:11], v[72:73]
	v_fma_f64 v[26:27], v[78:79], s[12:13], v[36:37]
	v_add_f64_e32 v[0:1], v[0:1], v[8:9]
	v_fma_f64 v[16:17], v[50:51], s[12:13], v[70:71]
	v_fma_f64 v[18:19], v[50:51], s[10:11], v[34:35]
	;; [unrolled: 1-line block ×12, first 2 shown]
	v_add_f64_e32 v[2:3], v[2:3], v[14:15]
	v_add_f64_e32 v[4:5], v[4:5], v[24:25]
	;; [unrolled: 1-line block ×3, first 2 shown]
	v_fma_f64 v[8:9], v[88:89], s[14:15], v[10:11]
	v_fma_f64 v[12:13], v[88:89], s[14:15], v[12:13]
	;; [unrolled: 1-line block ×16, first 2 shown]
	ds_store_b128 v218, v[0:3]
	ds_store_b128 v218, v[8:11] offset:208
	ds_store_b128 v218, v[16:19] offset:416
	;; [unrolled: 1-line block ×4, first 2 shown]
	ds_store_b128 v217, v[4:7]
	ds_store_b128 v217, v[24:27] offset:208
	ds_store_b128 v217, v[68:71] offset:416
	;; [unrolled: 1-line block ×4, first 2 shown]
	s_and_saveexec_b32 s16, vcc_lo
	s_cbranch_execz .LBB0_9
; %bb.8:
	v_mul_f64_e32 v[0:1], v[58:59], v[168:169]
	v_mul_f64_e32 v[2:3], v[54:55], v[160:161]
	;; [unrolled: 1-line block ×8, first 2 shown]
	v_fma_f64 v[0:1], v[56:57], v[170:171], -v[0:1]
	v_fma_f64 v[2:3], v[52:53], v[162:163], -v[2:3]
	;; [unrolled: 1-line block ×4, first 2 shown]
	v_fma_f64 v[8:9], v[56:57], v[168:169], v[8:9]
	v_fma_f64 v[10:11], v[60:61], v[120:121], v[10:11]
	;; [unrolled: 1-line block ×4, first 2 shown]
	v_add_f64_e32 v[28:29], v[158:159], v[2:3]
	v_add_f64_e32 v[16:17], v[2:3], v[4:5]
	;; [unrolled: 1-line block ×3, first 2 shown]
	v_add_f64_e64 v[32:33], v[2:3], -v[4:5]
	v_add_f64_e32 v[20:21], v[8:9], v[10:11]
	v_add_f64_e64 v[24:25], v[8:9], -v[10:11]
	v_add_f64_e64 v[26:27], v[12:13], -v[14:15]
	v_add_f64_e32 v[30:31], v[156:157], v[12:13]
	v_add_f64_e32 v[22:23], v[12:13], v[14:15]
	v_add_f64_e64 v[34:35], v[0:1], -v[6:7]
	v_add_f64_e64 v[36:37], v[0:1], -v[2:3]
	;; [unrolled: 1-line block ×9, first 2 shown]
	v_add_f64_e32 v[0:1], v[28:29], v[0:1]
	v_fma_f64 v[16:17], v[16:17], -0.5, v[158:159]
	v_fma_f64 v[18:19], v[18:19], -0.5, v[158:159]
	v_fma_f64 v[20:21], v[20:21], -0.5, v[156:157]
	v_add_f64_e32 v[8:9], v[30:31], v[8:9]
	v_fma_f64 v[22:23], v[22:23], -0.5, v[156:157]
	v_add_f64_e32 v[36:37], v[36:37], v[38:39]
	v_add_f64_e32 v[38:39], v[2:3], v[40:41]
	;; [unrolled: 1-line block ×5, first 2 shown]
	v_fma_f64 v[28:29], v[24:25], s[8:9], v[16:17]
	v_fma_f64 v[16:17], v[24:25], s[2:3], v[16:17]
	;; [unrolled: 1-line block ×6, first 2 shown]
	v_add_f64_e32 v[6:7], v[8:9], v[10:11]
	v_fma_f64 v[50:51], v[34:35], s[8:9], v[22:23]
	v_fma_f64 v[22:23], v[34:35], s[2:3], v[22:23]
	v_add_f64_e32 v[2:3], v[0:1], v[4:5]
	v_fma_f64 v[8:9], v[26:27], s[12:13], v[28:29]
	v_fma_f64 v[10:11], v[26:27], s[10:11], v[16:17]
	v_fma_f64 v[16:17], v[24:25], s[12:13], v[30:31]
	v_fma_f64 v[18:19], v[24:25], s[10:11], v[18:19]
	v_fma_f64 v[24:25], v[34:35], s[12:13], v[48:49]
	v_fma_f64 v[20:21], v[34:35], s[10:11], v[20:21]
	v_add_f64_e32 v[0:1], v[6:7], v[14:15]
	v_fma_f64 v[26:27], v[32:33], s[12:13], v[50:51]
	v_fma_f64 v[22:23], v[32:33], s[10:11], v[22:23]
	;; [unrolled: 1-line block ×8, first 2 shown]
	s_clause 0x1
	scratch_load_b32 v20, off, off offset:220 th:TH_LOAD_LU
	scratch_load_b32 v21, off, off offset:216 th:TH_LOAD_LU
	v_fma_f64 v[8:9], v[40:41], s[14:15], v[26:27]
	v_fma_f64 v[4:5], v[40:41], s[14:15], v[22:23]
	s_wait_loadcnt 0x1
	v_mul_u32_u24_e32 v20, 0x41, v20
	s_wait_loadcnt 0x0
	s_delay_alu instid0(VALU_DEP_1)
	v_add_nc_u32_e32 v20, v20, v21
	scratch_load_b32 v21, off, off th:TH_LOAD_LU ; 4-byte Folded Reload
	s_wait_loadcnt 0x0
	v_lshl_add_u32 v20, v20, 4, v21
	ds_store_b128 v20, v[0:3]
	ds_store_b128 v20, v[16:19] offset:208
	ds_store_b128 v20, v[8:11] offset:416
	;; [unrolled: 1-line block ×4, first 2 shown]
.LBB0_9:
	s_wait_alu 0xfffe
	s_or_b32 exec_lo, exec_lo, s16
	global_wb scope:SCOPE_SE
	s_wait_dscnt 0x0
	s_barrier_signal -1
	s_barrier_wait -1
	global_inv scope:SCOPE_SE
	ds_load_b128 v[0:3], v255 offset:1040
	ds_load_b128 v[6:9], v255 offset:12480
	;; [unrolled: 1-line block ×4, first 2 shown]
	ds_load_b128 v[52:55], v255
	ds_load_b128 v[18:21], v255 offset:3120
	ds_load_b128 v[22:25], v255 offset:10400
	;; [unrolled: 1-line block ×8, first 2 shown]
	s_mov_b32 s12, 0x4267c47c
	s_mov_b32 s10, 0x42a4c3d2
	;; [unrolled: 1-line block ×13, first 2 shown]
	s_wait_dscnt 0xc
	v_mul_f64_e32 v[4:5], v[114:115], v[2:3]
	v_mul_f64_e32 v[30:31], v[114:115], v[0:1]
	s_wait_dscnt 0xb
	v_mul_f64_e32 v[32:33], v[154:155], v[6:7]
	s_wait_dscnt 0xa
	;; [unrolled: 2-line block ×3, first 2 shown]
	v_mul_f64_e32 v[36:37], v[150:151], v[14:15]
	v_mul_f64_e32 v[38:39], v[106:107], v[12:13]
	s_wait_dscnt 0x7
	v_mul_f64_e32 v[40:41], v[102:103], v[18:19]
	s_wait_dscnt 0x6
	v_mul_f64_e32 v[42:43], v[146:147], v[22:23]
	v_mul_f64_e32 v[46:47], v[154:155], v[8:9]
	;; [unrolled: 1-line block ×3, first 2 shown]
	s_wait_dscnt 0x5
	v_mul_f64_e32 v[76:77], v[110:111], v[26:27]
	v_mul_f64_e32 v[78:79], v[146:147], v[24:25]
	;; [unrolled: 1-line block ×4, first 2 shown]
	s_wait_dscnt 0x1
	v_mul_f64_e32 v[86:87], v[126:127], v[68:69]
	v_mul_f64_e32 v[92:93], v[134:135], v[62:63]
	;; [unrolled: 1-line block ×5, first 2 shown]
	s_wait_dscnt 0x0
	v_mul_f64_e32 v[88:89], v[138:139], v[74:75]
	v_mul_f64_e32 v[90:91], v[138:139], v[72:73]
	s_mov_b32 s40, 0x4bc48dbf
	s_mov_b32 s42, 0x93053d00
	;; [unrolled: 1-line block ×16, first 2 shown]
	s_wait_alu 0xfffe
	s_mov_b32 s2, s12
	v_fma_f64 v[84:85], v[112:113], v[0:1], v[4:5]
	v_fma_f64 v[30:31], v[112:113], v[2:3], -v[30:31]
	v_fma_f64 v[0:1], v[152:153], v[8:9], -v[32:33]
	v_fma_f64 v[32:33], v[104:105], v[12:13], -v[34:35]
	v_fma_f64 v[4:5], v[148:149], v[16:17], -v[36:37]
	v_mul_f64_e32 v[36:37], v[126:127], v[70:71]
	v_fma_f64 v[20:21], v[100:101], v[20:21], -v[40:41]
	v_fma_f64 v[8:9], v[144:145], v[24:25], -v[42:43]
	v_fma_f64 v[24:25], v[104:105], v[10:11], v[38:39]
	v_fma_f64 v[2:3], v[152:153], v[6:7], v[46:47]
	;; [unrolled: 1-line block ×4, first 2 shown]
	v_fma_f64 v[22:23], v[108:109], v[28:29], -v[76:77]
	v_mul_f64_e32 v[16:17], v[130:131], v[58:59]
	v_fma_f64 v[38:39], v[100:101], v[18:19], v[44:45]
	v_fma_f64 v[50:51], v[124:125], v[70:71], -v[86:87]
	v_mul_f64_e32 v[34:35], v[130:131], v[56:57]
	v_fma_f64 v[26:27], v[108:109], v[26:27], v[48:49]
	v_fma_f64 v[18:19], v[132:133], v[60:61], v[92:93]
	;; [unrolled: 1-line block ×3, first 2 shown]
	v_fma_f64 v[12:13], v[140:141], v[66:67], -v[82:83]
	s_mov_b32 s8, s10
	s_mov_b32 s22, s18
	;; [unrolled: 1-line block ×5, first 2 shown]
	v_add_f64_e32 v[28:29], v[52:53], v[84:85]
	v_add_f64_e32 v[40:41], v[54:55], v[30:31]
	v_add_f64_e64 v[42:43], v[30:31], -v[0:1]
	v_add_f64_e32 v[30:31], v[30:31], v[0:1]
	v_add_f64_e64 v[44:45], v[32:33], -v[4:5]
	v_fma_f64 v[36:37], v[124:125], v[68:69], v[36:37]
	v_add_f64_e32 v[46:47], v[32:33], v[4:5]
	v_add_f64_e64 v[60:61], v[20:21], -v[8:9]
	v_add_f64_e32 v[64:65], v[84:85], v[2:3]
	v_add_f64_e32 v[68:69], v[24:25], v[6:7]
	v_add_f64_e64 v[70:71], v[24:25], -v[6:7]
	v_add_f64_e64 v[66:67], v[84:85], -v[2:3]
	v_fma_f64 v[48:49], v[128:129], v[56:57], v[16:17]
	v_fma_f64 v[16:17], v[132:133], v[62:63], -v[94:95]
	v_add_f64_e32 v[62:63], v[20:21], v[8:9]
	v_fma_f64 v[34:35], v[128:129], v[58:59], -v[34:35]
	v_fma_f64 v[56:57], v[136:137], v[72:73], v[88:89]
	v_fma_f64 v[58:59], v[136:137], v[74:75], -v[90:91]
	v_add_f64_e32 v[72:73], v[38:39], v[10:11]
	v_add_f64_e64 v[74:75], v[38:39], -v[10:11]
	v_add_f64_e32 v[78:79], v[22:23], v[12:13]
	v_add_f64_e64 v[82:83], v[22:23], -v[12:13]
	;; [unrolled: 2-line block ×3, first 2 shown]
	v_add_f64_e32 v[24:25], v[28:29], v[24:25]
	v_add_f64_e32 v[28:29], v[40:41], v[32:33]
	v_mul_f64_e32 v[32:33], s[12:13], v[42:43]
	v_mul_f64_e32 v[84:85], s[10:11], v[42:43]
	;; [unrolled: 1-line block ×18, first 2 shown]
	s_wait_alu 0xfffe
	v_mul_f64_e32 v[112:113], s[38:39], v[44:45]
	v_mul_f64_e32 v[114:115], s[36:37], v[46:47]
	;; [unrolled: 1-line block ×18, first 2 shown]
	v_add_f64_e32 v[24:25], v[24:25], v[38:39]
	v_add_f64_e32 v[20:21], v[28:29], v[20:21]
	v_fma_f64 v[28:29], v[64:65], s[14:15], v[32:33]
	v_fma_f64 v[32:33], v[64:65], s[14:15], -v[32:33]
	v_fma_f64 v[160:161], v[64:65], s[16:17], v[84:85]
	v_fma_f64 v[84:85], v[64:65], s[16:17], -v[84:85]
	v_fma_f64 v[164:165], v[64:65], s[20:21], v[88:89]
	v_fma_f64 v[38:39], v[66:67], s[2:3], v[40:41]
	;; [unrolled: 1-line block ×6, first 2 shown]
	v_fma_f64 v[88:89], v[64:65], s[20:21], -v[88:89]
	v_fma_f64 v[90:91], v[66:67], s[18:19], v[90:91]
	v_fma_f64 v[168:169], v[64:65], s[28:29], v[92:93]
	;; [unrolled: 1-line block ×3, first 2 shown]
	v_fma_f64 v[92:93], v[64:65], s[28:29], -v[92:93]
	v_fma_f64 v[94:95], v[66:67], s[26:27], v[94:95]
	v_fma_f64 v[172:173], v[64:65], s[36:37], v[96:97]
	;; [unrolled: 1-line block ×3, first 2 shown]
	v_fma_f64 v[96:97], v[64:65], s[36:37], -v[96:97]
	v_fma_f64 v[176:177], v[64:65], s[42:43], v[42:43]
	v_fma_f64 v[178:179], v[66:67], s[34:35], v[30:31]
	v_fma_f64 v[42:43], v[64:65], s[42:43], -v[42:43]
	v_fma_f64 v[30:31], v[66:67], s[40:41], v[30:31]
	v_fma_f64 v[64:65], v[68:69], s[16:17], v[100:101]
	v_fma_f64 v[100:101], v[68:69], s[16:17], -v[100:101]
	v_fma_f64 v[180:181], v[68:69], s[28:29], v[104:105]
	v_fma_f64 v[104:105], v[68:69], s[28:29], -v[104:105]
	v_fma_f64 v[184:185], v[68:69], s[42:43], v[108:109]
	v_mul_f64_e32 v[140:141], s[26:27], v[82:83]
	v_mul_f64_e32 v[142:143], s[28:29], v[78:79]
	;; [unrolled: 1-line block ×8, first 2 shown]
	v_add_f64_e32 v[24:25], v[24:25], v[26:27]
	v_add_f64_e32 v[20:21], v[20:21], v[22:23]
	v_mul_f64_e32 v[156:157], s[34:35], v[82:83]
	v_add_f64_e32 v[32:33], v[52:53], v[32:33]
	v_add_f64_e32 v[160:161], v[52:53], v[160:161]
	;; [unrolled: 1-line block ×4, first 2 shown]
	v_mul_f64_e32 v[158:159], s[42:43], v[78:79]
	v_mul_f64_e32 v[82:83], s[8:9], v[82:83]
	;; [unrolled: 1-line block ×3, first 2 shown]
	v_fma_f64 v[98:99], v[66:67], s[24:25], v[98:99]
	v_fma_f64 v[66:67], v[70:71], s[8:9], v[102:103]
	;; [unrolled: 1-line block ×6, first 2 shown]
	v_fma_f64 v[108:109], v[68:69], s[42:43], -v[108:109]
	v_fma_f64 v[110:111], v[70:71], s[40:41], v[110:111]
	v_fma_f64 v[188:189], v[68:69], s[36:37], v[112:113]
	;; [unrolled: 1-line block ×3, first 2 shown]
	v_fma_f64 v[22:23], v[68:69], s[36:37], -v[112:113]
	v_fma_f64 v[26:27], v[70:71], s[38:39], v[114:115]
	v_fma_f64 v[112:113], v[68:69], s[20:21], v[116:117]
	;; [unrolled: 1-line block ×3, first 2 shown]
	v_fma_f64 v[116:117], v[68:69], s[20:21], -v[116:117]
	v_add_f64_e32 v[28:29], v[52:53], v[28:29]
	v_fma_f64 v[192:193], v[68:69], s[14:15], v[44:45]
	v_add_f64_e32 v[38:39], v[54:55], v[38:39]
	v_fma_f64 v[194:195], v[70:71], s[12:13], v[46:47]
	v_fma_f64 v[44:45], v[68:69], s[14:15], -v[44:45]
	v_fma_f64 v[46:47], v[70:71], s[2:3], v[46:47]
	v_fma_f64 v[68:69], v[72:73], s[20:21], v[120:121]
	v_add_f64_e32 v[40:41], v[54:55], v[40:41]
	v_fma_f64 v[120:121], v[72:73], s[20:21], -v[120:121]
	v_add_f64_e32 v[162:163], v[54:55], v[162:163]
	v_add_f64_e32 v[86:87], v[54:55], v[86:87]
	v_add_f64_e32 v[166:167], v[54:55], v[166:167]
	v_add_f64_e32 v[88:89], v[52:53], v[88:89]
	v_add_f64_e32 v[24:25], v[24:25], v[48:49]
	v_add_f64_e32 v[20:21], v[20:21], v[34:35]
	v_add_f64_e32 v[90:91], v[54:55], v[90:91]
	v_add_f64_e32 v[168:169], v[52:53], v[168:169]
	v_add_f64_e32 v[170:171], v[54:55], v[170:171]
	v_add_f64_e32 v[92:93], v[52:53], v[92:93]
	v_add_f64_e32 v[94:95], v[54:55], v[94:95]
	v_add_f64_e32 v[172:173], v[52:53], v[172:173]
	v_add_f64_e32 v[174:175], v[54:55], v[174:175]
	v_add_f64_e32 v[96:97], v[52:53], v[96:97]
	v_add_f64_e32 v[176:177], v[52:53], v[176:177]
	v_add_f64_e32 v[178:179], v[54:55], v[178:179]
	v_add_f64_e32 v[42:43], v[52:53], v[42:43]
	v_add_f64_e32 v[30:31], v[54:55], v[30:31]
	v_fma_f64 v[52:53], v[72:73], s[42:43], v[124:125]
	v_add_f64_e32 v[32:33], v[100:101], v[32:33]
	v_add_f64_e32 v[160:161], v[180:181], v[160:161]
	;; [unrolled: 1-line block ×4, first 2 shown]
	v_add_f64_e64 v[164:165], v[34:35], -v[16:17]
	v_add_f64_e32 v[34:35], v[34:35], v[16:17]
	v_fma_f64 v[118:119], v[70:71], s[22:23], v[118:119]
	v_fma_f64 v[70:71], v[74:75], s[22:23], v[122:123]
	;; [unrolled: 1-line block ×3, first 2 shown]
	v_add_f64_e32 v[98:99], v[54:55], v[98:99]
	v_fma_f64 v[54:55], v[74:75], s[34:35], v[126:127]
	v_fma_f64 v[124:125], v[72:73], s[42:43], -v[124:125]
	v_fma_f64 v[126:127], v[74:75], s[40:41], v[126:127]
	v_add_f64_e32 v[28:29], v[64:65], v[28:29]
	v_fma_f64 v[64:65], v[72:73], s[28:29], v[128:129]
	v_add_f64_e32 v[38:39], v[66:67], v[38:39]
	v_fma_f64 v[66:67], v[74:75], s[26:27], v[130:131]
	v_fma_f64 v[128:129], v[72:73], s[28:29], -v[128:129]
	v_fma_f64 v[130:131], v[74:75], s[30:31], v[130:131]
	v_fma_f64 v[100:101], v[72:73], s[14:15], v[132:133]
	v_add_f64_e32 v[40:41], v[102:103], v[40:41]
	v_fma_f64 v[102:103], v[74:75], s[12:13], v[134:135]
	v_fma_f64 v[132:133], v[72:73], s[14:15], -v[132:133]
	v_add_f64_e32 v[24:25], v[24:25], v[36:37]
	v_add_f64_e32 v[20:21], v[20:21], v[50:51]
	v_fma_f64 v[134:135], v[74:75], s[2:3], v[134:135]
	v_fma_f64 v[180:181], v[72:73], s[16:17], v[136:137]
	v_add_f64_e32 v[162:163], v[182:183], v[162:163]
	v_fma_f64 v[182:183], v[74:75], s[8:9], v[138:139]
	v_fma_f64 v[136:137], v[72:73], s[16:17], -v[136:137]
	v_fma_f64 v[138:139], v[74:75], s[10:11], v[138:139]
	v_add_f64_e32 v[86:87], v[106:107], v[86:87]
	v_add_f64_e32 v[106:107], v[186:187], v[166:167]
	;; [unrolled: 1-line block ×10, first 2 shown]
	v_fma_f64 v[112:113], v[72:73], s[36:37], v[60:61]
	v_fma_f64 v[114:115], v[74:75], s[38:39], v[62:63]
	v_fma_f64 v[60:61], v[72:73], s[36:37], -v[60:61]
	v_fma_f64 v[62:63], v[74:75], s[24:25], v[62:63]
	v_fma_f64 v[72:73], v[76:77], s[28:29], v[140:141]
	v_fma_f64 v[74:75], v[80:81], s[30:31], v[142:143]
	v_fma_f64 v[140:141], v[76:77], s[28:29], -v[140:141]
	v_fma_f64 v[142:143], v[80:81], s[26:27], v[142:143]
	;; [unrolled: 4-line block ×5, first 2 shown]
	v_add_f64_e32 v[24:25], v[24:25], v[56:57]
	v_add_f64_e32 v[20:21], v[20:21], v[58:59]
	v_fma_f64 v[186:187], v[76:77], s[42:43], v[156:157]
	v_fma_f64 v[188:189], v[80:81], s[40:41], v[158:159]
	v_fma_f64 v[156:157], v[76:77], s[42:43], -v[156:157]
	v_fma_f64 v[158:159], v[80:81], s[34:35], v[158:159]
	v_fma_f64 v[190:191], v[76:77], s[16:17], v[82:83]
	v_fma_f64 v[76:77], v[76:77], s[16:17], -v[82:83]
	v_fma_f64 v[82:83], v[80:81], s[10:11], v[78:79]
	v_fma_f64 v[78:79], v[80:81], s[8:9], v[78:79]
	v_add_f64_e64 v[80:81], v[50:51], -v[58:59]
	v_add_f64_e32 v[50:51], v[50:51], v[58:59]
	v_add_f64_e32 v[96:97], v[116:117], v[96:97]
	;; [unrolled: 1-line block ×3, first 2 shown]
	v_add_f64_e64 v[36:37], v[36:37], -v[56:57]
	v_add_f64_e32 v[56:57], v[48:49], v[18:19]
	v_add_f64_e64 v[48:49], v[48:49], -v[18:19]
	v_mul_f64_e32 v[58:59], s[36:37], v[34:35]
	v_add_f64_e32 v[178:179], v[194:195], v[178:179]
	v_mul_f64_e32 v[194:195], s[20:21], v[34:35]
	v_add_f64_e32 v[30:31], v[46:47], v[30:31]
	;; [unrolled: 2-line block ×4, first 2 shown]
	v_mul_f64_e32 v[160:161], s[14:15], v[34:35]
	v_mul_f64_e32 v[34:35], s[28:29], v[34:35]
	v_add_f64_e32 v[98:99], v[118:119], v[98:99]
	v_mul_f64_e32 v[118:119], s[24:25], v[164:165]
	v_add_f64_e32 v[176:177], v[192:193], v[176:177]
	;; [unrolled: 2-line block ×6, first 2 shown]
	v_add_f64_e32 v[18:19], v[24:25], v[18:19]
	v_add_f64_e32 v[16:17], v[20:21], v[16:17]
	;; [unrolled: 1-line block ×9, first 2 shown]
	v_mul_f64_e32 v[164:165], s[26:27], v[164:165]
	v_mul_f64_e32 v[162:163], s[40:41], v[80:81]
	;; [unrolled: 1-line block ×3, first 2 shown]
	v_add_f64_e32 v[96:97], v[136:137], v[96:97]
	v_mul_f64_e32 v[104:105], s[14:15], v[50:51]
	v_add_f64_e32 v[66:67], v[66:67], v[106:107]
	v_mul_f64_e32 v[106:107], s[24:25], v[80:81]
	v_mul_f64_e32 v[128:129], s[36:37], v[50:51]
	v_add_f64_e32 v[90:91], v[130:131], v[90:91]
	v_mul_f64_e32 v[130:131], s[8:9], v[80:81]
	;; [unrolled: 3-line block ×3, first 2 shown]
	v_mul_f64_e32 v[50:51], s[20:21], v[50:51]
	v_add_f64_e32 v[102:103], v[102:103], v[110:111]
	v_add_f64_e32 v[22:23], v[132:133], v[22:23]
	v_fma_f64 v[132:133], v[48:49], s[38:39], v[58:59]
	v_fma_f64 v[62:63], v[48:49], s[30:31], v[34:35]
	;; [unrolled: 1-line block ×4, first 2 shown]
	v_fma_f64 v[118:119], v[56:57], s[36:37], -v[118:119]
	v_add_f64_e32 v[26:27], v[134:135], v[26:27]
	v_fma_f64 v[134:135], v[56:57], s[20:21], v[192:193]
	v_fma_f64 v[180:181], v[48:49], s[18:19], v[194:195]
	v_fma_f64 v[192:193], v[56:57], s[20:21], -v[192:193]
	v_fma_f64 v[194:195], v[48:49], s[22:23], v[194:195]
	v_fma_f64 v[182:183], v[56:57], s[16:17], v[44:45]
	v_fma_f64 v[44:45], v[56:57], s[16:17], -v[44:45]
	v_add_f64_e32 v[98:99], v[138:139], v[98:99]
	v_add_f64_e32 v[14:15], v[18:19], v[14:15]
	;; [unrolled: 1-line block ×3, first 2 shown]
	v_fma_f64 v[16:17], v[48:49], s[26:27], v[34:35]
	v_add_f64_e32 v[34:35], v[70:71], v[38:39]
	v_fma_f64 v[138:139], v[56:57], s[42:43], v[68:69]
	v_add_f64_e32 v[114:115], v[114:115], v[178:179]
	;; [unrolled: 2-line block ×3, first 2 shown]
	v_fma_f64 v[60:61], v[48:49], s[12:13], v[160:161]
	v_fma_f64 v[122:123], v[56:57], s[14:15], -v[122:123]
	v_add_f64_e32 v[28:29], v[72:73], v[28:29]
	v_add_f64_e32 v[32:33], v[140:141], v[32:33]
	;; [unrolled: 1-line block ×13, first 2 shown]
	v_fma_f64 v[136:137], v[48:49], s[8:9], v[46:47]
	v_fma_f64 v[46:47], v[48:49], s[10:11], v[46:47]
	v_add_f64_e32 v[112:113], v[112:113], v[176:177]
	v_fma_f64 v[176:177], v[48:49], s[40:41], v[120:121]
	v_fma_f64 v[68:69], v[56:57], s[42:43], -v[68:69]
	v_fma_f64 v[120:121], v[48:49], s[34:35], v[120:121]
	v_fma_f64 v[160:161], v[48:49], s[2:3], v[160:161]
	;; [unrolled: 1-line block ×3, first 2 shown]
	v_fma_f64 v[56:57], v[56:57], s[28:29], -v[164:165]
	v_fma_f64 v[48:49], v[116:117], s[42:43], -v[162:163]
	v_fma_f64 v[70:71], v[36:37], s[40:41], v[124:125]
	v_fma_f64 v[164:165], v[36:37], s[12:13], v[104:105]
	;; [unrolled: 1-line block ×4, first 2 shown]
	v_add_f64_e32 v[90:91], v[150:151], v[90:91]
	v_add_f64_e32 v[10:11], v[14:15], v[10:11]
	v_add_f64_e32 v[8:9], v[12:13], v[8:9]
	v_add_f64_e32 v[98:99], v[158:159], v[98:99]
	v_add_f64_e32 v[12:13], v[74:75], v[34:35]
	v_add_f64_e32 v[30:31], v[78:79], v[30:31]
	v_add_f64_e32 v[82:83], v[82:83], v[114:115]
	v_fma_f64 v[78:79], v[116:117], s[16:17], v[130:131]
	v_add_f64_e32 v[42:43], v[76:77], v[42:43]
	v_fma_f64 v[76:77], v[116:117], s[36:37], -v[106:107]
	v_fma_f64 v[106:107], v[36:37], s[10:11], v[24:25]
	v_fma_f64 v[114:115], v[116:117], s[16:17], -v[130:131]
	v_fma_f64 v[74:75], v[36:37], s[30:31], v[20:21]
	v_fma_f64 v[130:131], v[36:37], s[26:27], v[20:21]
	;; [unrolled: 1-line block ×4, first 2 shown]
	v_add_f64_e32 v[14:15], v[110:111], v[28:29]
	v_add_f64_e32 v[20:21], v[118:119], v[32:33]
	;; [unrolled: 1-line block ×13, first 2 shown]
	v_fma_f64 v[92:93], v[36:37], s[8:9], v[24:25]
	v_fma_f64 v[94:95], v[36:37], s[24:25], v[128:129]
	;; [unrolled: 1-line block ×4, first 2 shown]
	v_mul_f64_e32 v[126:127], s[2:3], v[80:81]
	v_add_f64_e32 v[66:67], v[172:173], v[66:67]
	v_add_f64_e32 v[102:103], v[184:185], v[102:103]
	v_mul_f64_e32 v[108:109], s[26:27], v[80:81]
	v_mul_f64_e32 v[80:81], s[22:23], v[80:81]
	v_add_f64_e32 v[46:47], v[46:47], v[90:91]
	v_add_f64_e32 v[6:7], v[10:11], v[6:7]
	v_add_f64_e32 v[112:113], v[190:191], v[112:113]
	v_add_f64_e32 v[90:91], v[160:161], v[98:99]
	v_add_f64_e32 v[100:101], v[132:133], v[12:13]
	v_add_f64_e32 v[98:99], v[8:9], v[4:5]
	v_add_f64_e32 v[22:23], v[152:153], v[22:23]
	v_add_f64_e32 v[26:27], v[154:155], v[26:27]
	v_fma_f64 v[38:39], v[116:117], s[42:43], v[162:163]
	v_add_f64_e32 v[62:63], v[62:63], v[82:83]
	v_add_f64_e32 v[42:43], v[56:57], v[42:43]
	;; [unrolled: 1-line block ×3, first 2 shown]
	s_mul_u64 s[2:3], s[4:5], 0x410
	v_add_f64_e32 v[8:9], v[48:49], v[20:21]
	v_add_f64_e32 v[10:11], v[70:71], v[28:29]
	;; [unrolled: 1-line block ×5, first 2 shown]
	v_fma_f64 v[162:163], v[116:117], s[14:15], v[126:127]
	v_add_f64_e32 v[58:59], v[136:137], v[66:67]
	v_add_f64_e32 v[66:67], v[176:177], v[102:103]
	v_fma_f64 v[34:35], v[116:117], s[28:29], v[108:109]
	v_fma_f64 v[142:143], v[116:117], s[20:21], v[80:81]
	v_fma_f64 v[126:127], v[116:117], s[14:15], -v[126:127]
	v_add_f64_e32 v[72:73], v[6:7], v[2:3]
	v_add_f64_e32 v[18:19], v[18:19], v[112:113]
	v_fma_f64 v[80:81], v[116:117], s[20:21], -v[80:81]
	v_add_f64_e32 v[6:7], v[36:37], v[100:101]
	scratch_load_b32 v36, off, off offset:52 th:TH_LOAD_LU ; 4-byte Folded Reload
	v_add_f64_e32 v[68:69], v[68:69], v[22:23]
	v_fma_f64 v[108:109], v[116:117], s[28:29], -v[108:109]
	v_add_f64_e32 v[26:27], v[120:121], v[26:27]
	v_add_f64_e32 v[4:5], v[38:39], v[14:15]
	;; [unrolled: 1-line block ×20, first 2 shown]
	v_mad_co_u64_u32 v[32:33], null, s6, v208, 0
	ds_store_b128 v255, v[12:15] offset:2080
	ds_store_b128 v255, v[20:23] offset:3120
	;; [unrolled: 1-line block ×11, first 2 shown]
	ds_store_b128 v255, v[72:75]
	ds_store_b128 v255, v[4:7] offset:1040
	global_wb scope:SCOPE_SE
	s_wait_loadcnt_dscnt 0x0
	s_barrier_signal -1
	s_barrier_wait -1
	global_inv scope:SCOPE_SE
	ds_load_b128 v[8:11], v255 offset:2080
	ds_load_b128 v[4:7], v255 offset:1040
	v_mad_co_u64_u32 v[34:35], null, s4, v36, 0
	s_delay_alu instid0(VALU_DEP_1) | instskip(NEXT) | instid1(VALU_DEP_1)
	v_dual_mov_b32 v0, v33 :: v_dual_mov_b32 v1, v35
	v_mad_co_u64_u32 v[2:3], null, s7, v208, v[0:1]
	s_delay_alu instid0(VALU_DEP_1) | instskip(SKIP_1) | instid1(VALU_DEP_2)
	v_mov_b32_e32 v33, v2
	v_mad_co_u64_u32 v[0:1], null, s5, v36, v[1:2]
	v_lshlrev_b64_e32 v[28:29], 4, v[32:33]
	s_delay_alu instid0(VALU_DEP_2)
	v_mov_b32_e32 v35, v0
	ds_load_b128 v[0:3], v255
	v_add_co_u32 v82, vcc_lo, s0, v28
	ds_load_b128 v[12:15], v255 offset:3120
	ds_load_b128 v[16:19], v255 offset:4160
	;; [unrolled: 1-line block ×4, first 2 shown]
	s_wait_alu 0xfffd
	v_add_co_ci_u32_e32 v83, vcc_lo, s1, v29, vcc_lo
	ds_load_b128 v[28:31], v255 offset:7280
	ds_load_b128 v[52:55], v255 offset:8320
	;; [unrolled: 1-line block ×6, first 2 shown]
	s_clause 0x1
	scratch_load_b128 v[114:117], off, off offset:20 th:TH_LOAD_LU
	scratch_load_b128 v[110:113], off, off offset:4 th:TH_LOAD_LU
	v_lshlrev_b64_e32 v[32:33], 4, v[34:35]
	s_mov_b32 s0, 0x622898b1
	s_mov_b32 s1, 0x3f5363ac
	s_delay_alu instid0(VALU_DEP_1) | instskip(SKIP_1) | instid1(VALU_DEP_2)
	v_add_co_u32 v82, vcc_lo, v82, v32
	s_wait_alu 0xfffd
	v_add_co_ci_u32_e32 v83, vcc_lo, v83, v33, vcc_lo
	s_wait_alu 0xfffe
	s_delay_alu instid0(VALU_DEP_2) | instskip(SKIP_1) | instid1(VALU_DEP_2)
	v_add_co_u32 v106, vcc_lo, v82, s2
	s_wait_alu 0xfffd
	v_add_co_ci_u32_e32 v107, vcc_lo, s3, v83, vcc_lo
	s_delay_alu instid0(VALU_DEP_2) | instskip(SKIP_1) | instid1(VALU_DEP_2)
	v_add_co_u32 v108, vcc_lo, v106, s2
	s_wait_alu 0xfffd
	v_add_co_ci_u32_e32 v109, vcc_lo, s3, v107, vcc_lo
	s_wait_loadcnt_dscnt 0x10a
	v_mul_f64_e32 v[34:35], v[116:117], v[2:3]
	v_mul_f64_e32 v[36:37], v[116:117], v[0:1]
	scratch_load_b128 v[116:119], off, off offset:36 th:TH_LOAD_LU ; 16-byte Folded Reload
	s_wait_loadcnt 0x1
	v_mul_f64_e32 v[38:39], v[112:113], v[6:7]
	v_mul_f64_e32 v[40:41], v[112:113], v[4:5]
	v_fma_f64 v[0:1], v[114:115], v[0:1], v[34:35]
	v_fma_f64 v[2:3], v[114:115], v[2:3], -v[36:37]
	s_delay_alu instid0(VALU_DEP_4) | instskip(NEXT) | instid1(VALU_DEP_4)
	v_fma_f64 v[4:5], v[110:111], v[4:5], v[38:39]
	v_fma_f64 v[6:7], v[110:111], v[6:7], -v[40:41]
	s_delay_alu instid0(VALU_DEP_4) | instskip(NEXT) | instid1(VALU_DEP_4)
	v_mul_f64_e32 v[0:1], s[0:1], v[0:1]
	v_mul_f64_e32 v[2:3], s[0:1], v[2:3]
	s_delay_alu instid0(VALU_DEP_4) | instskip(NEXT) | instid1(VALU_DEP_4)
	v_mul_f64_e32 v[4:5], s[0:1], v[4:5]
	v_mul_f64_e32 v[6:7], s[0:1], v[6:7]
	s_wait_loadcnt 0x0
	v_mul_f64_e32 v[42:43], v[118:119], v[10:11]
	v_mul_f64_e32 v[44:45], v[118:119], v[8:9]
	scratch_load_b128 v[118:121], off, off offset:56 th:TH_LOAD_LU ; 16-byte Folded Reload
	v_fma_f64 v[8:9], v[116:117], v[8:9], v[42:43]
	v_fma_f64 v[10:11], v[116:117], v[10:11], -v[44:45]
	s_delay_alu instid0(VALU_DEP_2) | instskip(NEXT) | instid1(VALU_DEP_2)
	v_mul_f64_e32 v[8:9], s[0:1], v[8:9]
	v_mul_f64_e32 v[10:11], s[0:1], v[10:11]
	s_wait_loadcnt_dscnt 0x9
	v_mul_f64_e32 v[46:47], v[120:121], v[14:15]
	v_mul_f64_e32 v[48:49], v[120:121], v[12:13]
	scratch_load_b128 v[120:123], off, off offset:72 th:TH_LOAD_LU ; 16-byte Folded Reload
	v_fma_f64 v[12:13], v[118:119], v[12:13], v[46:47]
	v_fma_f64 v[14:15], v[118:119], v[14:15], -v[48:49]
	s_delay_alu instid0(VALU_DEP_2) | instskip(NEXT) | instid1(VALU_DEP_2)
	v_mul_f64_e32 v[12:13], s[0:1], v[12:13]
	v_mul_f64_e32 v[14:15], s[0:1], v[14:15]
	s_wait_loadcnt_dscnt 0x8
	v_mul_f64_e32 v[50:51], v[122:123], v[18:19]
	v_mul_f64_e32 v[72:73], v[122:123], v[16:17]
	scratch_load_b128 v[122:125], off, off offset:88 th:TH_LOAD_LU ; 16-byte Folded Reload
	v_fma_f64 v[16:17], v[120:121], v[16:17], v[50:51]
	v_fma_f64 v[18:19], v[120:121], v[18:19], -v[72:73]
	v_add_co_u32 v72, vcc_lo, v108, s2
	s_wait_alu 0xfffd
	v_add_co_ci_u32_e32 v73, vcc_lo, s3, v109, vcc_lo
	s_delay_alu instid0(VALU_DEP_4) | instskip(NEXT) | instid1(VALU_DEP_4)
	v_mul_f64_e32 v[16:17], s[0:1], v[16:17]
	v_mul_f64_e32 v[18:19], s[0:1], v[18:19]
	s_wait_loadcnt_dscnt 0x7
	v_mul_f64_e32 v[74:75], v[124:125], v[22:23]
	v_mul_f64_e32 v[76:77], v[124:125], v[20:21]
	scratch_load_b128 v[124:127], off, off offset:104 th:TH_LOAD_LU ; 16-byte Folded Reload
	v_fma_f64 v[20:21], v[122:123], v[20:21], v[74:75]
	v_fma_f64 v[22:23], v[122:123], v[22:23], -v[76:77]
	s_delay_alu instid0(VALU_DEP_2) | instskip(NEXT) | instid1(VALU_DEP_2)
	v_mul_f64_e32 v[20:21], s[0:1], v[20:21]
	v_mul_f64_e32 v[22:23], s[0:1], v[22:23]
	s_wait_loadcnt_dscnt 0x6
	v_mul_f64_e32 v[78:79], v[126:127], v[26:27]
	v_mul_f64_e32 v[80:81], v[126:127], v[24:25]
	scratch_load_b128 v[126:129], off, off offset:120 th:TH_LOAD_LU ; 16-byte Folded Reload
	v_fma_f64 v[24:25], v[124:125], v[24:25], v[78:79]
	v_fma_f64 v[26:27], v[124:125], v[26:27], -v[80:81]
	s_delay_alu instid0(VALU_DEP_2) | instskip(NEXT) | instid1(VALU_DEP_2)
	;; [unrolled: 9-line block ×3, first 2 shown]
	v_mul_f64_e32 v[28:29], s[0:1], v[28:29]
	v_mul_f64_e32 v[30:31], s[0:1], v[30:31]
	s_wait_loadcnt_dscnt 0x4
	v_mul_f64_e32 v[86:87], v[130:131], v[54:55]
	v_mul_f64_e32 v[88:89], v[130:131], v[52:53]
	scratch_load_b128 v[130:133], off, off offset:152 th:TH_LOAD_LU ; 16-byte Folded Reload
	v_fma_f64 v[32:33], v[128:129], v[52:53], v[86:87]
	v_fma_f64 v[34:35], v[128:129], v[54:55], -v[88:89]
	v_add_co_u32 v52, vcc_lo, v72, s2
	s_wait_alu 0xfffd
	v_add_co_ci_u32_e32 v53, vcc_lo, s3, v73, vcc_lo
	s_delay_alu instid0(VALU_DEP_2) | instskip(SKIP_1) | instid1(VALU_DEP_2)
	v_add_co_u32 v54, vcc_lo, v52, s2
	s_wait_alu 0xfffd
	v_add_co_ci_u32_e32 v55, vcc_lo, s3, v53, vcc_lo
	v_mul_f64_e32 v[32:33], s[0:1], v[32:33]
	v_mul_f64_e32 v[34:35], s[0:1], v[34:35]
	s_wait_loadcnt_dscnt 0x3
	v_mul_f64_e32 v[90:91], v[132:133], v[58:59]
	v_mul_f64_e32 v[92:93], v[132:133], v[56:57]
	scratch_load_b128 v[132:135], off, off offset:168 th:TH_LOAD_LU ; 16-byte Folded Reload
	v_fma_f64 v[36:37], v[130:131], v[56:57], v[90:91]
	v_fma_f64 v[38:39], v[130:131], v[58:59], -v[92:93]
	v_add_co_u32 v56, vcc_lo, v54, s2
	s_wait_alu 0xfffd
	v_add_co_ci_u32_e32 v57, vcc_lo, s3, v55, vcc_lo
	s_delay_alu instid0(VALU_DEP_2) | instskip(SKIP_1) | instid1(VALU_DEP_2)
	v_add_co_u32 v58, vcc_lo, v56, s2
	s_wait_alu 0xfffd
	v_add_co_ci_u32_e32 v59, vcc_lo, s3, v57, vcc_lo
	v_mul_f64_e32 v[36:37], s[0:1], v[36:37]
	v_mul_f64_e32 v[38:39], s[0:1], v[38:39]
	s_wait_loadcnt_dscnt 0x2
	v_mul_f64_e32 v[94:95], v[134:135], v[62:63]
	v_mul_f64_e32 v[96:97], v[134:135], v[60:61]
	scratch_load_b128 v[134:137], off, off offset:184 th:TH_LOAD_LU ; 16-byte Folded Reload
	v_fma_f64 v[40:41], v[132:133], v[60:61], v[94:95]
	v_fma_f64 v[42:43], v[132:133], v[62:63], -v[96:97]
	v_add_co_u32 v60, vcc_lo, v58, s2
	s_wait_alu 0xfffd
	v_add_co_ci_u32_e32 v61, vcc_lo, s3, v59, vcc_lo
	s_delay_alu instid0(VALU_DEP_2) | instskip(SKIP_1) | instid1(VALU_DEP_2)
	v_add_co_u32 v62, vcc_lo, v60, s2
	s_wait_alu 0xfffd
	v_add_co_ci_u32_e32 v63, vcc_lo, s3, v61, vcc_lo
	v_mul_f64_e32 v[40:41], s[0:1], v[40:41]
	v_mul_f64_e32 v[42:43], s[0:1], v[42:43]
	s_wait_loadcnt_dscnt 0x1
	v_mul_f64_e32 v[98:99], v[136:137], v[66:67]
	v_mul_f64_e32 v[100:101], v[136:137], v[64:65]
	scratch_load_b128 v[136:139], off, off offset:200 th:TH_LOAD_LU ; 16-byte Folded Reload
	s_clause 0x4
	global_store_b128 v[82:83], v[0:3], off
	global_store_b128 v[106:107], v[4:7], off
	global_store_b128 v[108:109], v[8:11], off
	global_store_b128 v[72:73], v[12:15], off
	global_store_b128 v[52:53], v[16:19], off
	global_store_b128 v[54:55], v[20:23], off
	v_add_co_u32 v0, vcc_lo, v62, s2
	s_wait_alu 0xfffd
	v_add_co_ci_u32_e32 v1, vcc_lo, s3, v63, vcc_lo
	global_store_b128 v[56:57], v[24:27], off
	v_add_co_u32 v2, vcc_lo, v0, s2
	s_wait_alu 0xfffd
	v_add_co_ci_u32_e32 v3, vcc_lo, s3, v1, vcc_lo
	global_store_b128 v[58:59], v[28:31], off
	v_add_co_u32 v4, vcc_lo, v2, s2
	s_wait_alu 0xfffd
	v_add_co_ci_u32_e32 v5, vcc_lo, s3, v3, vcc_lo
	v_fma_f64 v[44:45], v[134:135], v[64:65], v[98:99]
	v_fma_f64 v[46:47], v[134:135], v[66:67], -v[100:101]
	s_delay_alu instid0(VALU_DEP_2) | instskip(NEXT) | instid1(VALU_DEP_2)
	v_mul_f64_e32 v[44:45], s[0:1], v[44:45]
	v_mul_f64_e32 v[46:47], s[0:1], v[46:47]
	s_wait_loadcnt_dscnt 0x0
	v_mul_f64_e32 v[102:103], v[138:139], v[70:71]
	v_mul_f64_e32 v[104:105], v[138:139], v[68:69]
	s_delay_alu instid0(VALU_DEP_2) | instskip(NEXT) | instid1(VALU_DEP_2)
	v_fma_f64 v[48:49], v[136:137], v[68:69], v[102:103]
	v_fma_f64 v[50:51], v[136:137], v[70:71], -v[104:105]
	s_delay_alu instid0(VALU_DEP_2) | instskip(NEXT) | instid1(VALU_DEP_2)
	v_mul_f64_e32 v[48:49], s[0:1], v[48:49]
	v_mul_f64_e32 v[50:51], s[0:1], v[50:51]
	global_store_b128 v[60:61], v[32:35], off
	global_store_b128 v[62:63], v[36:39], off
	;; [unrolled: 1-line block ×5, first 2 shown]
.LBB0_10:
	s_nop 0
	s_sendmsg sendmsg(MSG_DEALLOC_VGPRS)
	s_endpgm
	.section	.rodata,"a",@progbits
	.p2align	6, 0x0
	.amdhsa_kernel bluestein_single_fwd_len845_dim1_dp_op_CI_CI
		.amdhsa_group_segment_fixed_size 40560
		.amdhsa_private_segment_fixed_size 292
		.amdhsa_kernarg_size 104
		.amdhsa_user_sgpr_count 2
		.amdhsa_user_sgpr_dispatch_ptr 0
		.amdhsa_user_sgpr_queue_ptr 0
		.amdhsa_user_sgpr_kernarg_segment_ptr 1
		.amdhsa_user_sgpr_dispatch_id 0
		.amdhsa_user_sgpr_private_segment_size 0
		.amdhsa_wavefront_size32 1
		.amdhsa_uses_dynamic_stack 0
		.amdhsa_enable_private_segment 1
		.amdhsa_system_sgpr_workgroup_id_x 1
		.amdhsa_system_sgpr_workgroup_id_y 0
		.amdhsa_system_sgpr_workgroup_id_z 0
		.amdhsa_system_sgpr_workgroup_info 0
		.amdhsa_system_vgpr_workitem_id 0
		.amdhsa_next_free_vgpr 256
		.amdhsa_next_free_sgpr 46
		.amdhsa_reserve_vcc 1
		.amdhsa_float_round_mode_32 0
		.amdhsa_float_round_mode_16_64 0
		.amdhsa_float_denorm_mode_32 3
		.amdhsa_float_denorm_mode_16_64 3
		.amdhsa_fp16_overflow 0
		.amdhsa_workgroup_processor_mode 1
		.amdhsa_memory_ordered 1
		.amdhsa_forward_progress 0
		.amdhsa_round_robin_scheduling 0
		.amdhsa_exception_fp_ieee_invalid_op 0
		.amdhsa_exception_fp_denorm_src 0
		.amdhsa_exception_fp_ieee_div_zero 0
		.amdhsa_exception_fp_ieee_overflow 0
		.amdhsa_exception_fp_ieee_underflow 0
		.amdhsa_exception_fp_ieee_inexact 0
		.amdhsa_exception_int_div_zero 0
	.end_amdhsa_kernel
	.text
.Lfunc_end0:
	.size	bluestein_single_fwd_len845_dim1_dp_op_CI_CI, .Lfunc_end0-bluestein_single_fwd_len845_dim1_dp_op_CI_CI
                                        ; -- End function
	.section	.AMDGPU.csdata,"",@progbits
; Kernel info:
; codeLenInByte = 21348
; NumSgprs: 48
; NumVgprs: 256
; ScratchSize: 292
; MemoryBound: 0
; FloatMode: 240
; IeeeMode: 1
; LDSByteSize: 40560 bytes/workgroup (compile time only)
; SGPRBlocks: 5
; VGPRBlocks: 31
; NumSGPRsForWavesPerEU: 48
; NumVGPRsForWavesPerEU: 256
; Occupancy: 5
; WaveLimiterHint : 1
; COMPUTE_PGM_RSRC2:SCRATCH_EN: 1
; COMPUTE_PGM_RSRC2:USER_SGPR: 2
; COMPUTE_PGM_RSRC2:TRAP_HANDLER: 0
; COMPUTE_PGM_RSRC2:TGID_X_EN: 1
; COMPUTE_PGM_RSRC2:TGID_Y_EN: 0
; COMPUTE_PGM_RSRC2:TGID_Z_EN: 0
; COMPUTE_PGM_RSRC2:TIDIG_COMP_CNT: 0
	.text
	.p2alignl 7, 3214868480
	.fill 96, 4, 3214868480
	.type	__hip_cuid_c7849adcff72e0ae,@object ; @__hip_cuid_c7849adcff72e0ae
	.section	.bss,"aw",@nobits
	.globl	__hip_cuid_c7849adcff72e0ae
__hip_cuid_c7849adcff72e0ae:
	.byte	0                               ; 0x0
	.size	__hip_cuid_c7849adcff72e0ae, 1

	.ident	"AMD clang version 19.0.0git (https://github.com/RadeonOpenCompute/llvm-project roc-6.4.0 25133 c7fe45cf4b819c5991fe208aaa96edf142730f1d)"
	.section	".note.GNU-stack","",@progbits
	.addrsig
	.addrsig_sym __hip_cuid_c7849adcff72e0ae
	.amdgpu_metadata
---
amdhsa.kernels:
  - .args:
      - .actual_access:  read_only
        .address_space:  global
        .offset:         0
        .size:           8
        .value_kind:     global_buffer
      - .actual_access:  read_only
        .address_space:  global
        .offset:         8
        .size:           8
        .value_kind:     global_buffer
      - .actual_access:  read_only
        .address_space:  global
        .offset:         16
        .size:           8
        .value_kind:     global_buffer
      - .actual_access:  read_only
        .address_space:  global
        .offset:         24
        .size:           8
        .value_kind:     global_buffer
      - .actual_access:  read_only
        .address_space:  global
        .offset:         32
        .size:           8
        .value_kind:     global_buffer
      - .offset:         40
        .size:           8
        .value_kind:     by_value
      - .address_space:  global
        .offset:         48
        .size:           8
        .value_kind:     global_buffer
      - .address_space:  global
        .offset:         56
        .size:           8
        .value_kind:     global_buffer
      - .address_space:  global
        .offset:         64
        .size:           8
        .value_kind:     global_buffer
      - .address_space:  global
        .offset:         72
        .size:           8
        .value_kind:     global_buffer
      - .offset:         80
        .size:           4
        .value_kind:     by_value
      - .address_space:  global
        .offset:         88
        .size:           8
        .value_kind:     global_buffer
      - .address_space:  global
        .offset:         96
        .size:           8
        .value_kind:     global_buffer
    .group_segment_fixed_size: 40560
    .kernarg_segment_align: 8
    .kernarg_segment_size: 104
    .language:       OpenCL C
    .language_version:
      - 2
      - 0
    .max_flat_workgroup_size: 195
    .name:           bluestein_single_fwd_len845_dim1_dp_op_CI_CI
    .private_segment_fixed_size: 292
    .sgpr_count:     48
    .sgpr_spill_count: 0
    .symbol:         bluestein_single_fwd_len845_dim1_dp_op_CI_CI.kd
    .uniform_work_group_size: 1
    .uses_dynamic_stack: false
    .vgpr_count:     256
    .vgpr_spill_count: 72
    .wavefront_size: 32
    .workgroup_processor_mode: 1
amdhsa.target:   amdgcn-amd-amdhsa--gfx1201
amdhsa.version:
  - 1
  - 2
...

	.end_amdgpu_metadata
